;; amdgpu-corpus repo=ROCm/rocFFT kind=compiled arch=gfx950 opt=O3
	.text
	.amdgcn_target "amdgcn-amd-amdhsa--gfx950"
	.amdhsa_code_object_version 6
	.protected	bluestein_single_back_len260_dim1_sp_op_CI_CI ; -- Begin function bluestein_single_back_len260_dim1_sp_op_CI_CI
	.globl	bluestein_single_back_len260_dim1_sp_op_CI_CI
	.p2align	8
	.type	bluestein_single_back_len260_dim1_sp_op_CI_CI,@function
bluestein_single_back_len260_dim1_sp_op_CI_CI: ; @bluestein_single_back_len260_dim1_sp_op_CI_CI
; %bb.0:
	s_load_dwordx4 s[8:11], s[0:1], 0x28
	v_mul_u32_u24_e32 v1, 0x9d9, v0
	v_lshrrev_b32_e32 v1, 16, v1
	v_lshl_add_u32 v40, s2, 1, v1
	v_mov_b32_e32 v41, 0
	s_waitcnt lgkmcnt(0)
	v_cmp_gt_u64_e32 vcc, s[8:9], v[40:41]
	s_and_saveexec_b64 s[2:3], vcc
	s_cbranch_execz .LBB0_15
; %bb.1:
	s_load_dwordx2 s[2:3], s[0:1], 0x0
	s_load_dwordx2 s[8:9], s[0:1], 0x38
	v_mul_lo_u16_e32 v2, 26, v1
	v_sub_u16_e32 v41, v0, v2
	v_and_b32_e32 v0, 1, v1
	v_mov_b32_e32 v1, 0x104
	v_cmp_eq_u32_e32 vcc, 1, v0
	v_lshlrev_b32_e32 v130, 3, v41
	s_nop 0
	v_cndmask_b32_e32 v131, 0, v1, vcc
	v_cmp_gt_u16_e32 vcc, 20, v41
	v_lshlrev_b32_e32 v132, 3, v131
	s_and_saveexec_b64 s[12:13], vcc
	s_cbranch_execz .LBB0_3
; %bb.2:
	s_load_dwordx2 s[4:5], s[0:1], 0x18
	v_mov_b32_e32 v0, s10
	v_mov_b32_e32 v1, s11
	;; [unrolled: 1-line block ×3, first 2 shown]
	v_or_b32_e32 v39, 0xa0, v41
	s_waitcnt lgkmcnt(0)
	s_load_dwordx4 s[4:7], s[4:5], 0x0
	v_lshl_add_u32 v56, v41, 3, v132
	v_add_u32_e32 v57, v132, v130
	s_waitcnt lgkmcnt(0)
	v_mad_u64_u32 v[2:3], s[10:11], s6, v40, 0
	v_mad_u64_u32 v[4:5], s[10:11], s4, v41, 0
	v_mov_b32_e32 v6, v3
	v_mov_b32_e32 v8, v5
	v_mad_u64_u32 v[6:7], s[6:7], s7, v40, v[6:7]
	v_mov_b32_e32 v3, v6
	v_mad_u64_u32 v[6:7], s[6:7], s5, v41, v[8:9]
	v_mov_b32_e32 v5, v6
	v_lshl_add_u64 v[0:1], v[2:3], 3, v[0:1]
	v_lshl_add_u64 v[2:3], v[4:5], 3, v[0:1]
	global_load_dwordx2 v[4:5], v[2:3], off
	v_mad_u64_u32 v[2:3], s[6:7], s4, v52, v[2:3]
	s_mul_i32 s10, s5, 0xa0
	v_add_u32_e32 v3, s10, v3
	v_mad_u64_u32 v[6:7], s[6:7], s4, v52, v[2:3]
	v_add_u32_e32 v7, s10, v7
	v_mad_u64_u32 v[8:9], s[6:7], s4, v52, v[6:7]
	;; [unrolled: 2-line block ×3, first 2 shown]
	v_add_u32_e32 v19, s10, v19
	global_load_dwordx2 v[10:11], v130, s[2:3]
	global_load_dwordx2 v[12:13], v130, s[2:3] offset:160
	global_load_dwordx2 v[14:15], v130, s[2:3] offset:320
	;; [unrolled: 1-line block ×3, first 2 shown]
	global_load_dwordx2 v[20:21], v[2:3], off
	global_load_dwordx2 v[22:23], v[6:7], off
	;; [unrolled: 1-line block ×4, first 2 shown]
	v_mad_u64_u32 v[2:3], s[6:7], s4, v52, v[18:19]
	v_add_u32_e32 v3, s10, v3
	v_mad_u64_u32 v[36:37], s[6:7], s4, v39, 0
	global_load_dwordx2 v[6:7], v[2:3], off
	v_mad_u64_u32 v[2:3], s[6:7], s4, v52, v[2:3]
	v_mov_b32_e32 v38, v37
	v_add_u32_e32 v3, s10, v3
	v_mad_u64_u32 v[38:39], s[6:7], s5, v39, v[38:39]
	global_load_dwordx2 v[8:9], v[2:3], off
	v_mad_u64_u32 v[2:3], s[6:7], s4, v52, v[2:3]
	v_mov_b32_e32 v37, v38
	v_add_u32_e32 v3, s10, v3
	v_lshl_add_u64 v[0:1], v[36:37], 3, v[0:1]
	v_mov_b32_e32 v36, 0x140
	global_load_dwordx2 v[18:19], v130, s[2:3] offset:640
	global_load_dwordx2 v[28:29], v[2:3], off
	global_load_dwordx2 v[30:31], v130, s[2:3] offset:800
	global_load_dwordx2 v[32:33], v130, s[2:3] offset:960
	;; [unrolled: 1-line block ×3, first 2 shown]
	v_mad_u64_u32 v[2:3], s[6:7], s4, v36, v[2:3]
	s_mulk_i32 s5, 0x140
	v_add_u32_e32 v3, s5, v3
	global_load_dwordx2 v[0:1], v[0:1], off
	s_nop 0
	global_load_dwordx2 v[36:37], v130, s[2:3] offset:1280
	global_load_dwordx2 v[42:43], v130, s[2:3] offset:1440
	global_load_dwordx2 v[38:39], v[2:3], off
	v_mad_u64_u32 v[2:3], s[6:7], s4, v52, v[2:3]
	v_add_u32_e32 v3, s10, v3
	global_load_dwordx2 v[44:45], v[2:3], off
	global_load_dwordx2 v[46:47], v130, s[2:3] offset:1600
	v_mad_u64_u32 v[2:3], s[6:7], s4, v52, v[2:3]
	v_add_u32_e32 v3, s10, v3
	global_load_dwordx2 v[48:49], v[2:3], off
	global_load_dwordx2 v[50:51], v130, s[2:3] offset:1760
	v_mad_u64_u32 v[2:3], s[4:5], s4, v52, v[2:3]
	v_add_u32_e32 v3, s10, v3
	global_load_dwordx2 v[52:53], v130, s[2:3] offset:1920
	global_load_dwordx2 v[54:55], v[2:3], off
	s_waitcnt vmcnt(24)
	v_mul_f32_e32 v3, v4, v11
	v_mul_f32_e32 v2, v5, v11
	v_fma_f32 v3, v5, v10, -v3
	v_fmac_f32_e32 v2, v4, v10
	ds_write_b64 v56, v[2:3]
	s_waitcnt vmcnt(20)
	v_mul_f32_e32 v2, v21, v13
	v_mul_f32_e32 v3, v20, v13
	s_waitcnt vmcnt(19)
	v_mul_f32_e32 v4, v23, v15
	v_mul_f32_e32 v5, v22, v15
	v_fmac_f32_e32 v2, v20, v12
	v_fma_f32 v3, v21, v12, -v3
	v_fmac_f32_e32 v4, v22, v14
	v_fma_f32 v5, v23, v14, -v5
	ds_write2_b64 v57, v[2:3], v[4:5] offset0:20 offset1:40
	s_waitcnt vmcnt(18)
	v_mul_f32_e32 v2, v25, v17
	v_mul_f32_e32 v3, v24, v17
	v_fmac_f32_e32 v2, v24, v16
	v_fma_f32 v3, v25, v16, -v3
	s_waitcnt vmcnt(14)
	v_mul_f32_e32 v4, v27, v19
	v_mul_f32_e32 v5, v26, v19
	v_fmac_f32_e32 v4, v26, v18
	v_fma_f32 v5, v27, v18, -v5
	ds_write2_b64 v57, v[2:3], v[4:5] offset0:60 offset1:80
	s_waitcnt vmcnt(12)
	v_mul_f32_e32 v2, v7, v31
	v_mul_f32_e32 v3, v6, v31
	s_waitcnt vmcnt(11)
	v_mul_f32_e32 v4, v9, v33
	v_mul_f32_e32 v5, v8, v33
	v_fmac_f32_e32 v2, v6, v30
	v_fma_f32 v3, v7, v30, -v3
	v_fmac_f32_e32 v4, v8, v32
	v_fma_f32 v5, v9, v32, -v5
	ds_write2_b64 v57, v[2:3], v[4:5] offset0:100 offset1:120
	s_waitcnt vmcnt(8)
	v_mul_f32_e32 v4, v1, v37
	v_mul_f32_e32 v2, v29, v35
	;; [unrolled: 1-line block ×3, first 2 shown]
	v_fmac_f32_e32 v4, v0, v36
	v_mul_f32_e32 v0, v0, v37
	v_fmac_f32_e32 v2, v28, v34
	v_fma_f32 v3, v29, v34, -v3
	v_fma_f32 v5, v1, v36, -v0
	ds_write2_b64 v57, v[2:3], v[4:5] offset0:140 offset1:160
	s_waitcnt vmcnt(6)
	v_mul_f32_e32 v0, v39, v43
	v_mul_f32_e32 v1, v38, v43
	s_waitcnt vmcnt(4)
	v_mul_f32_e32 v2, v45, v47
	v_mul_f32_e32 v3, v44, v47
	v_fmac_f32_e32 v0, v38, v42
	v_fma_f32 v1, v39, v42, -v1
	v_fmac_f32_e32 v2, v44, v46
	v_fma_f32 v3, v45, v46, -v3
	ds_write2_b64 v57, v[0:1], v[2:3] offset0:180 offset1:200
	s_waitcnt vmcnt(2)
	v_mul_f32_e32 v0, v49, v51
	v_mul_f32_e32 v1, v48, v51
	s_waitcnt vmcnt(0)
	v_mul_f32_e32 v2, v55, v53
	v_mul_f32_e32 v3, v54, v53
	v_fmac_f32_e32 v0, v48, v50
	v_fma_f32 v1, v49, v50, -v1
	v_fmac_f32_e32 v2, v54, v52
	v_fma_f32 v3, v55, v52, -v3
	ds_write2_b64 v57, v[0:1], v[2:3] offset0:220 offset1:240
.LBB0_3:
	s_or_b64 exec, exec, s[12:13]
	s_load_dwordx2 s[4:5], s[0:1], 0x20
	s_load_dwordx2 s[10:11], s[0:1], 0x8
	v_mov_b64_e32 v[0:1], 0
	s_waitcnt lgkmcnt(0)
	; wave barrier
	s_waitcnt lgkmcnt(0)
                                        ; implicit-def: $vgpr6
                                        ; implicit-def: $vgpr8
                                        ; implicit-def: $vgpr22
                                        ; implicit-def: $vgpr12
                                        ; implicit-def: $vgpr26
                                        ; implicit-def: $vgpr36
	s_and_saveexec_b64 s[0:1], vcc
	s_cbranch_execz .LBB0_5
; %bb.4:
	v_lshl_add_u32 v16, v131, 3, v130
	ds_read2_b64 v[0:3], v16 offset1:20
	ds_read2_b64 v[24:27], v16 offset0:40 offset1:60
	ds_read2_b64 v[20:23], v16 offset0:80 offset1:100
	;; [unrolled: 1-line block ×5, first 2 shown]
	ds_read_b64 v[36:37], v16 offset:1920
.LBB0_5:
	s_or_b64 exec, exec, s[0:1]
	s_waitcnt lgkmcnt(0)
	v_pk_add_f32 v[32:33], v[2:3], v[36:37] neg_lo:[0,1] neg_hi:[0,1]
	s_mov_b32 s22, 0xbf7e222b
	v_pk_add_f32 v[30:31], v[36:37], v[2:3]
	s_mov_b32 s0, 0x3df6dbef
	v_pk_mul_f32 v[16:17], v[32:33], s[22:23] op_sel_hi:[1,0]
	s_mov_b32 s20, 0xbf52af12
	v_pk_fma_f32 v[58:59], v[30:31], s[0:1], v[16:17] op_sel:[0,0,1] op_sel_hi:[1,0,0]
	v_pk_fma_f32 v[46:47], v[30:31], s[0:1], v[16:17] op_sel:[0,0,1] op_sel_hi:[1,0,0] neg_lo:[0,0,1] neg_hi:[0,0,1]
	v_pk_add_f32 v[64:65], v[24:25], v[14:15] neg_lo:[0,1] neg_hi:[0,1]
	s_mov_b32 s6, 0x3f116cb1
	v_pk_mul_f32 v[16:17], v[32:33], s[20:21] op_sel_hi:[1,0]
	s_mov_b32 s14, 0xbf6f5d39
	v_pk_add_f32 v[34:35], v[14:15], v[24:25]
	v_pk_fma_f32 v[48:49], v[30:31], s[6:7], v[16:17] op_sel:[0,0,1] op_sel_hi:[1,0,0]
	v_pk_fma_f32 v[50:51], v[30:31], s[6:7], v[16:17] op_sel:[0,0,1] op_sel_hi:[1,0,0] neg_lo:[0,0,1] neg_hi:[0,0,1]
	s_mov_b32 s12, 0xbeb58ec6
	v_pk_mul_f32 v[38:39], v[64:65], s[14:15] op_sel:[1,0] op_sel_hi:[0,0]
	v_mov_b32_e32 v16, v48
	v_mov_b32_e32 v17, v51
	v_pk_fma_f32 v[60:61], v[34:35], s[12:13], v[38:39] op_sel_hi:[1,0,1]
	v_pk_fma_f32 v[62:63], v[34:35], s[12:13], v[38:39] op_sel_hi:[1,0,1] neg_lo:[0,0,1] neg_hi:[0,0,1]
	v_pk_add_f32 v[16:17], v[16:17], v[0:1]
	v_mov_b32_e32 v38, v60
	v_mov_b32_e32 v39, v63
	s_mov_b32 s18, 0xbe750f2a
	v_pk_add_f32 v[16:17], v[38:39], v[16:17]
	s_mov_b32 s16, 0xbf788fa5
	v_pk_mul_f32 v[38:39], v[64:65], s[18:19] op_sel:[1,0] op_sel_hi:[0,0]
	v_mov_b32_e32 v18, v58
	v_mov_b32_e32 v19, v47
	v_pk_fma_f32 v[52:53], v[34:35], s[16:17], v[38:39] op_sel_hi:[1,0,1]
	v_pk_fma_f32 v[56:57], v[34:35], s[16:17], v[38:39] op_sel_hi:[1,0,1] neg_lo:[0,0,1] neg_hi:[0,0,1]
	v_pk_add_f32 v[18:19], v[18:19], v[0:1]
	v_mov_b32_e32 v38, v52
	v_mov_b32_e32 v39, v57
	v_pk_add_f32 v[86:87], v[26:27], v[12:13] neg_lo:[0,1] neg_hi:[0,1]
	v_pk_add_f32 v[28:29], v[12:13], v[26:27]
	v_pk_add_f32 v[18:19], v[38:39], v[18:19]
	v_pk_mul_f32 v[38:39], v[86:87], s[18:19] op_sel:[1,0] op_sel_hi:[0,0]
	v_pk_fma_f32 v[70:71], v[28:29], s[16:17], v[38:39] op_sel_hi:[1,0,1]
	v_pk_fma_f32 v[72:73], v[28:29], s[16:17], v[38:39] op_sel_hi:[1,0,1] neg_lo:[0,0,1] neg_hi:[0,0,1]
	v_mov_b32_e32 v38, v70
	v_mov_b32_e32 v39, v73
	s_mov_b32 s24, 0x3f6f5d39
	v_pk_add_f32 v[16:17], v[38:39], v[16:17]
	v_pk_mul_f32 v[38:39], v[86:87], s[24:25] op_sel:[1,0] op_sel_hi:[0,0]
	v_pk_fma_f32 v[66:67], v[28:29], s[12:13], v[38:39] op_sel_hi:[1,0,1]
	v_pk_fma_f32 v[68:69], v[28:29], s[12:13], v[38:39] op_sel_hi:[1,0,1] neg_lo:[0,0,1] neg_hi:[0,0,1]
	v_mov_b32_e32 v38, v66
	v_mov_b32_e32 v39, v69
	s_mov_b32 s38, 0x3f29c268
	v_pk_add_f32 v[100:101], v[20:21], v[10:11] neg_lo:[0,1] neg_hi:[0,1]
	v_pk_add_f32 v[18:19], v[38:39], v[18:19]
	s_mov_b32 s24, 0xbf3f9e67
	v_pk_add_f32 v[38:39], v[10:11], v[20:21]
	v_pk_mul_f32 v[42:43], v[100:101], s[38:39] op_sel:[1,0] op_sel_hi:[0,0]
	v_pk_fma_f32 v[78:79], v[38:39], s[24:25], v[42:43] op_sel_hi:[1,0,1]
	v_pk_fma_f32 v[80:81], v[38:39], s[24:25], v[42:43] op_sel_hi:[1,0,1] neg_lo:[0,0,1] neg_hi:[0,0,1]
	v_mov_b32_e32 v42, v78
	v_mov_b32_e32 v43, v81
	s_mov_b32 s34, 0x3eedf032
	v_pk_add_f32 v[16:17], v[42:43], v[16:17]
	s_mov_b32 s30, 0x3f62ad3f
	v_pk_mul_f32 v[42:43], v[100:101], s[34:35] op_sel:[1,0] op_sel_hi:[0,0]
	v_pk_fma_f32 v[74:75], v[38:39], s[30:31], v[42:43] op_sel_hi:[1,0,1]
	v_pk_fma_f32 v[76:77], v[38:39], s[30:31], v[42:43] op_sel_hi:[1,0,1] neg_lo:[0,0,1] neg_hi:[0,0,1]
	v_mov_b32_e32 v42, v74
	v_mov_b32_e32 v43, v77
	s_mov_b32 s28, 0x3f7e222b
	v_pk_add_f32 v[102:103], v[22:23], v[8:9] neg_lo:[0,1] neg_hi:[0,1]
	v_pk_add_f32 v[18:19], v[42:43], v[18:19]
	v_pk_add_f32 v[42:43], v[8:9], v[22:23]
	v_pk_mul_f32 v[44:45], v[102:103], s[28:29] op_sel:[1,0] op_sel_hi:[0,0]
	v_pk_fma_f32 v[88:89], v[42:43], s[0:1], v[44:45] op_sel_hi:[1,0,1]
	v_pk_fma_f32 v[90:91], v[42:43], s[0:1], v[44:45] op_sel_hi:[1,0,1] neg_lo:[0,0,1] neg_hi:[0,0,1]
	v_mov_b32_e32 v44, v88
	v_mov_b32_e32 v45, v91
	v_pk_add_f32 v[16:17], v[44:45], v[16:17]
	v_pk_mul_f32 v[44:45], v[102:103], s[20:21] op_sel:[1,0] op_sel_hi:[0,0]
	v_pk_fma_f32 v[82:83], v[42:43], s[6:7], v[44:45] op_sel_hi:[1,0,1]
	v_pk_fma_f32 v[84:85], v[42:43], s[6:7], v[44:45] op_sel_hi:[1,0,1] neg_lo:[0,0,1] neg_hi:[0,0,1]
	v_mov_b32_e32 v44, v82
	v_mov_b32_e32 v45, v85
	v_pk_add_f32 v[104:105], v[4:5], v[6:7] neg_lo:[0,1] neg_hi:[0,1]
	v_pk_add_f32 v[54:55], v[44:45], v[18:19]
	v_pk_add_f32 v[44:45], v[6:7], v[4:5]
	v_pk_mul_f32 v[18:19], v[104:105], s[34:35] op_sel:[1,0] op_sel_hi:[0,0]
	v_pk_fma_f32 v[96:97], v[44:45], s[30:31], v[18:19] op_sel_hi:[1,0,1]
	v_pk_fma_f32 v[98:99], v[44:45], s[30:31], v[18:19] op_sel_hi:[1,0,1] neg_lo:[0,0,1] neg_hi:[0,0,1]
	s_mov_b32 s36, 0xbf29c268
	v_mov_b32_e32 v18, v96
	v_mov_b32_e32 v19, v99
	v_pk_add_f32 v[18:19], v[18:19], v[16:17]
	v_pk_mul_f32 v[16:17], v[104:105], s[36:37] op_sel:[1,0] op_sel_hi:[0,0]
	v_pk_fma_f32 v[92:93], v[44:45], s[24:25], v[16:17] op_sel_hi:[1,0,1]
	v_pk_fma_f32 v[94:95], v[44:45], s[24:25], v[16:17] op_sel_hi:[1,0,1] neg_lo:[0,0,1] neg_hi:[0,0,1]
	v_mov_b32_e32 v16, v92
	v_mov_b32_e32 v17, v95
	s_mov_b32 s26, 0xbeedf032
	v_pk_add_f32 v[16:17], v[16:17], v[54:55]
	v_pk_mul_f32 v[54:55], v[32:33], s[26:27] op_sel_hi:[1,0]
	v_pk_mul_f32 v[112:113], v[64:65], s[20:21] op_sel:[1,0] op_sel_hi:[0,0]
	v_pk_fma_f32 v[106:107], v[30:31], s[30:31], v[54:55] op_sel:[0,0,1] op_sel_hi:[1,0,0]
	v_pk_fma_f32 v[108:109], v[30:31], s[30:31], v[54:55] op_sel:[0,0,1] op_sel_hi:[1,0,0] neg_lo:[0,0,1] neg_hi:[0,0,1]
	v_mov_b32_e32 v54, v106
	v_mov_b32_e32 v55, v109
	v_pk_fma_f32 v[110:111], v[34:35], s[6:7], v[112:113] op_sel_hi:[1,0,1]
	v_pk_fma_f32 v[112:113], v[34:35], s[6:7], v[112:113] op_sel_hi:[1,0,1] neg_lo:[0,0,1] neg_hi:[0,0,1]
	v_pk_add_f32 v[54:55], v[54:55], v[0:1]
	v_mov_b32_e32 v114, v110
	v_mov_b32_e32 v115, v113
	v_pk_mul_f32 v[116:117], v[86:87], s[22:23] op_sel:[1,0] op_sel_hi:[0,0]
	v_pk_add_f32 v[54:55], v[114:115], v[54:55]
	v_pk_fma_f32 v[114:115], v[28:29], s[0:1], v[116:117] op_sel_hi:[1,0,1]
	v_pk_fma_f32 v[116:117], v[28:29], s[0:1], v[116:117] op_sel_hi:[1,0,1] neg_lo:[0,0,1] neg_hi:[0,0,1]
	v_mov_b32_e32 v118, v114
	v_mov_b32_e32 v119, v117
	v_pk_mul_f32 v[120:121], v[100:101], s[14:15] op_sel:[1,0] op_sel_hi:[0,0]
	v_pk_add_f32 v[54:55], v[118:119], v[54:55]
	v_pk_fma_f32 v[118:119], v[38:39], s[12:13], v[120:121] op_sel_hi:[1,0,1]
	v_pk_fma_f32 v[120:121], v[38:39], s[12:13], v[120:121] op_sel_hi:[1,0,1] neg_lo:[0,0,1] neg_hi:[0,0,1]
	;; [unrolled: 6-line block ×4, first 2 shown]
	v_mov_b32_e32 v134, v126
	v_mov_b32_e32 v135, v129
	v_pk_add_f32 v[54:55], v[134:135], v[54:55]
	v_mul_lo_u16_e32 v82, 13, v41
	s_waitcnt lgkmcnt(0)
	; wave barrier
	s_and_saveexec_b64 s[26:27], vcc
	s_cbranch_execz .LBB0_7
; %bb.6:
	v_pk_add_f32 v[2:3], v[2:3], v[0:1]
	v_mov_b32_e32 v109, v107
	v_pk_add_f32 v[2:3], v[24:25], v[2:3]
	v_mov_b32_e32 v113, v111
	;; [unrolled: 2-line block ×5, first 2 shown]
	v_pk_add_f32 v[2:3], v[4:5], v[2:3]
	v_pk_add_f32 v[4:5], v[108:109], v[0:1]
	;; [unrolled: 1-line block ×11, first 2 shown]
	v_mov_b32_e32 v129, v127
	v_mov_b32_e32 v47, v59
	v_add_lshl_u32 v92, v131, v82, 3
	v_pk_add_f32 v[2:3], v[36:37], v[2:3]
	v_pk_add_f32 v[4:5], v[128:129], v[4:5]
	v_mov_b32_e32 v51, v49
	ds_write2_b64 v92, v[2:3], v[4:5] offset1:1
	v_pk_add_f32 v[2:3], v[50:51], v[0:1]
	v_mov_b32_e32 v63, v61
	v_pk_add_f32 v[4:5], v[46:47], v[0:1]
	v_mov_b32_e32 v57, v53
	;; [unrolled: 2-line block ×10, first 2 shown]
	v_pk_add_f32 v[2:3], v[98:99], v[2:3]
	v_pk_add_f32 v[4:5], v[94:95], v[4:5]
	v_mov_b32_e32 v20, v65
	v_mov_b32_e32 v21, v64
	ds_write2_b64 v92, v[2:3], v[4:5] offset0:2 offset1:3
	v_pk_mul_f32 v[2:3], v[32:33], s[14:15] op_sel_hi:[1,0]
	v_pk_mul_f32 v[8:9], v[20:21], s[38:39] op_sel_hi:[1,0]
	v_pk_fma_f32 v[4:5], v[30:31], s[12:13], v[2:3] op_sel:[0,0,1] op_sel_hi:[1,0,0] neg_lo:[0,0,1] neg_hi:[0,0,1]
	v_pk_fma_f32 v[2:3], v[30:31], s[12:13], v[2:3] op_sel:[0,0,1] op_sel_hi:[1,0,0]
	v_mov_b32_e32 v6, v4
	v_mov_b32_e32 v7, v3
	v_pk_fma_f32 v[10:11], v[34:35], s[24:25], v[8:9] op_sel_hi:[1,0,1] neg_lo:[0,0,1] neg_hi:[0,0,1]
	v_pk_fma_f32 v[8:9], v[34:35], s[24:25], v[8:9] op_sel_hi:[1,0,1]
	v_mov_b32_e32 v22, v87
	v_mov_b32_e32 v23, v86
	v_pk_add_f32 v[6:7], v[6:7], v[0:1]
	v_mov_b32_e32 v12, v10
	v_mov_b32_e32 v13, v9
	v_pk_add_f32 v[6:7], v[12:13], v[6:7]
	v_pk_mul_f32 v[12:13], v[22:23], s[34:35] op_sel_hi:[1,0]
	v_mov_b32_e32 v24, v101
	v_pk_fma_f32 v[14:15], v[28:29], s[30:31], v[12:13] op_sel_hi:[1,0,1] neg_lo:[0,0,1] neg_hi:[0,0,1]
	v_pk_fma_f32 v[12:13], v[28:29], s[30:31], v[12:13] op_sel_hi:[1,0,1]
	v_mov_b32_e32 v25, v100
	v_mov_b32_e32 v36, v14
	;; [unrolled: 1-line block ×3, first 2 shown]
	v_pk_add_f32 v[6:7], v[36:37], v[6:7]
	v_pk_mul_f32 v[36:37], v[24:25], s[22:23] op_sel_hi:[1,0]
	v_mov_b32_e32 v26, v103
	v_pk_fma_f32 v[46:47], v[38:39], s[0:1], v[36:37] op_sel_hi:[1,0,1] neg_lo:[0,0,1] neg_hi:[0,0,1]
	v_pk_fma_f32 v[36:37], v[38:39], s[0:1], v[36:37] op_sel_hi:[1,0,1]
	v_mov_b32_e32 v27, v102
	v_mov_b32_e32 v48, v46
	v_mov_b32_e32 v49, v37
	s_mov_b32 s22, 0x3e750f2a
	v_pk_add_f32 v[6:7], v[48:49], v[6:7]
	v_pk_mul_f32 v[48:49], v[26:27], s[22:23] op_sel_hi:[1,0]
	v_mov_b32_e32 v64, v105
	v_pk_fma_f32 v[50:51], v[42:43], s[16:17], v[48:49] op_sel_hi:[1,0,1] neg_lo:[0,0,1] neg_hi:[0,0,1]
	v_pk_fma_f32 v[48:49], v[42:43], s[16:17], v[48:49] op_sel_hi:[1,0,1]
	v_mov_b32_e32 v65, v104
	v_mov_b32_e32 v52, v50
	;; [unrolled: 1-line block ×3, first 2 shown]
	s_mov_b32 s38, 0x3f52af12
	v_pk_add_f32 v[6:7], v[52:53], v[6:7]
	v_pk_mul_f32 v[52:53], v[64:65], s[38:39] op_sel_hi:[1,0]
	v_pk_mul_f32 v[60:61], v[20:21], s[28:29] op_sel_hi:[1,0]
	v_pk_fma_f32 v[56:57], v[44:45], s[6:7], v[52:53] op_sel_hi:[1,0,1] neg_lo:[0,0,1] neg_hi:[0,0,1]
	v_pk_fma_f32 v[52:53], v[44:45], s[6:7], v[52:53] op_sel_hi:[1,0,1]
	v_mov_b32_e32 v58, v56
	v_mov_b32_e32 v59, v53
	v_pk_add_f32 v[6:7], v[58:59], v[6:7]
	v_pk_mul_f32 v[58:59], v[32:33], s[36:37] op_sel_hi:[1,0]
	v_pk_fma_f32 v[76:77], v[34:35], s[0:1], v[60:61] op_sel_hi:[1,0,1] neg_lo:[0,0,1] neg_hi:[0,0,1]
	v_pk_fma_f32 v[72:73], v[30:31], s[24:25], v[58:59] op_sel:[0,0,1] op_sel_hi:[1,0,0] neg_lo:[0,0,1] neg_hi:[0,0,1]
	v_pk_fma_f32 v[58:59], v[30:31], s[24:25], v[58:59] op_sel:[0,0,1] op_sel_hi:[1,0,0]
	v_mov_b32_e32 v74, v72
	v_mov_b32_e32 v75, v59
	v_pk_fma_f32 v[60:61], v[34:35], s[0:1], v[60:61] op_sel_hi:[1,0,1]
	v_pk_mul_f32 v[62:63], v[22:23], s[20:21] op_sel_hi:[1,0]
	v_pk_add_f32 v[74:75], v[74:75], v[0:1]
	v_mov_b32_e32 v78, v76
	v_mov_b32_e32 v79, v61
	v_pk_add_f32 v[74:75], v[78:79], v[74:75]
	v_pk_fma_f32 v[78:79], v[28:29], s[6:7], v[62:63] op_sel_hi:[1,0,1] neg_lo:[0,0,1] neg_hi:[0,0,1]
	v_pk_fma_f32 v[62:63], v[28:29], s[6:7], v[62:63] op_sel_hi:[1,0,1]
	v_pk_mul_f32 v[66:67], v[24:25], s[22:23] op_sel_hi:[1,0]
	v_mov_b32_e32 v80, v78
	v_mov_b32_e32 v81, v63
	v_pk_add_f32 v[74:75], v[80:81], v[74:75]
	v_pk_fma_f32 v[80:81], v[38:39], s[16:17], v[66:67] op_sel_hi:[1,0,1] neg_lo:[0,0,1] neg_hi:[0,0,1]
	v_pk_fma_f32 v[66:67], v[38:39], s[16:17], v[66:67] op_sel_hi:[1,0,1]
	v_pk_mul_f32 v[68:69], v[26:27], s[34:35] op_sel_hi:[1,0]
	;; [unrolled: 6-line block ×3, first 2 shown]
	v_mov_b32_e32 v86, v84
	v_mov_b32_e32 v87, v69
	v_pk_add_f32 v[74:75], v[86:87], v[74:75]
	v_pk_fma_f32 v[86:87], v[44:45], s[12:13], v[70:71] op_sel_hi:[1,0,1] neg_lo:[0,0,1] neg_hi:[0,0,1]
	v_pk_fma_f32 v[70:71], v[44:45], s[12:13], v[70:71] op_sel_hi:[1,0,1]
	v_mov_b32_e32 v88, v86
	v_mov_b32_e32 v89, v71
	v_pk_add_f32 v[74:75], v[88:89], v[74:75]
	ds_write2_b64 v92, v[6:7], v[74:75] offset0:4 offset1:5
	v_pk_mul_f32 v[6:7], v[32:33], s[18:19] op_sel_hi:[1,0]
	v_pk_mul_f32 v[20:21], v[20:21], s[34:35] op_sel_hi:[1,0]
	v_pk_fma_f32 v[32:33], v[30:31], s[16:17], v[6:7] op_sel:[0,0,1] op_sel_hi:[1,0,0] neg_lo:[0,0,1] neg_hi:[0,0,1]
	v_pk_fma_f32 v[6:7], v[30:31], s[16:17], v[6:7] op_sel:[0,0,1] op_sel_hi:[1,0,0]
	v_mov_b32_e32 v30, v32
	v_mov_b32_e32 v31, v7
	v_pk_fma_f32 v[74:75], v[34:35], s[30:31], v[20:21] op_sel_hi:[1,0,1] neg_lo:[0,0,1] neg_hi:[0,0,1]
	v_pk_fma_f32 v[20:21], v[34:35], s[30:31], v[20:21] op_sel_hi:[1,0,1]
	v_pk_add_f32 v[30:31], v[30:31], v[0:1]
	v_mov_b32_e32 v34, v74
	v_mov_b32_e32 v35, v21
	v_pk_mul_f32 v[22:23], v[22:23], s[36:37] op_sel_hi:[1,0]
	v_pk_add_f32 v[30:31], v[34:35], v[30:31]
	v_pk_fma_f32 v[34:35], v[28:29], s[24:25], v[22:23] op_sel_hi:[1,0,1] neg_lo:[0,0,1] neg_hi:[0,0,1]
	v_pk_fma_f32 v[22:23], v[28:29], s[24:25], v[22:23] op_sel_hi:[1,0,1]
	v_mov_b32_e32 v28, v34
	v_mov_b32_e32 v29, v23
	v_pk_mul_f32 v[24:25], v[24:25], s[38:39] op_sel_hi:[1,0]
	v_pk_add_f32 v[28:29], v[28:29], v[30:31]
	v_pk_fma_f32 v[30:31], v[38:39], s[6:7], v[24:25] op_sel_hi:[1,0,1] neg_lo:[0,0,1] neg_hi:[0,0,1]
	v_pk_fma_f32 v[24:25], v[38:39], s[6:7], v[24:25] op_sel_hi:[1,0,1]
	v_mov_b32_e32 v38, v30
	v_mov_b32_e32 v39, v25
	v_pk_mul_f32 v[26:27], v[26:27], s[14:15] op_sel_hi:[1,0]
	v_mov_b32_e32 v7, v33
	v_pk_add_f32 v[28:29], v[38:39], v[28:29]
	v_pk_fma_f32 v[38:39], v[42:43], s[12:13], v[26:27] op_sel_hi:[1,0,1] neg_lo:[0,0,1] neg_hi:[0,0,1]
	v_pk_fma_f32 v[26:27], v[42:43], s[12:13], v[26:27] op_sel_hi:[1,0,1]
	v_pk_add_f32 v[6:7], v[6:7], v[0:1]
	v_mov_b32_e32 v21, v75
	v_mov_b32_e32 v42, v38
	;; [unrolled: 1-line block ×3, first 2 shown]
	v_pk_add_f32 v[6:7], v[20:21], v[6:7]
	v_mov_b32_e32 v23, v35
	v_pk_add_f32 v[28:29], v[42:43], v[28:29]
	v_pk_mul_f32 v[42:43], v[64:65], s[28:29] op_sel_hi:[1,0]
	v_pk_add_f32 v[6:7], v[22:23], v[6:7]
	v_mov_b32_e32 v25, v31
	v_pk_fma_f32 v[64:65], v[44:45], s[0:1], v[42:43] op_sel_hi:[1,0,1] neg_lo:[0,0,1] neg_hi:[0,0,1]
	v_pk_fma_f32 v[42:43], v[44:45], s[0:1], v[42:43] op_sel_hi:[1,0,1]
	v_pk_add_f32 v[6:7], v[24:25], v[6:7]
	v_mov_b32_e32 v27, v39
	v_mov_b32_e32 v44, v64
	v_mov_b32_e32 v45, v43
	v_pk_add_f32 v[6:7], v[26:27], v[6:7]
	v_mov_b32_e32 v43, v65
	v_pk_add_f32 v[28:29], v[44:45], v[28:29]
	v_pk_add_f32 v[6:7], v[42:43], v[6:7]
	v_mov_b32_e32 v59, v73
	v_mov_b32_e32 v3, v5
	ds_write2_b64 v92, v[28:29], v[6:7] offset0:6 offset1:7
	v_pk_add_f32 v[6:7], v[58:59], v[0:1]
	v_mov_b32_e32 v61, v77
	v_pk_add_f32 v[0:1], v[2:3], v[0:1]
	v_mov_b32_e32 v9, v11
	;; [unrolled: 2-line block ×10, first 2 shown]
	v_pk_add_f32 v[6:7], v[70:71], v[6:7]
	v_pk_add_f32 v[0:1], v[52:53], v[0:1]
	ds_write2_b64 v92, v[6:7], v[0:1] offset0:8 offset1:9
	ds_write2_b64 v92, v[16:17], v[18:19] offset0:10 offset1:11
	ds_write_b64 v92, v[54:55] offset:96
.LBB0_7:
	s_or_b64 exec, exec, s[26:27]
	v_add_u32_e32 v0, -13, v41
	v_cmp_gt_u16_e64 s[0:1], 13, v41
	s_load_dwordx4 s[4:7], s[4:5], 0x0
	s_waitcnt lgkmcnt(0)
	v_cndmask_b32_e64 v44, v0, v41, s[0:1]
	v_mul_hi_i32_i24_e32 v1, 0x48, v44
	v_mul_i32_i24_e32 v0, 0x48, v44
	v_lshl_add_u64 v[20:21], s[10:11], 0, v[0:1]
	; wave barrier
	global_load_dwordx4 v[12:15], v[20:21], off
	global_load_dwordx4 v[8:11], v[20:21], off offset:16
	global_load_dwordx4 v[4:7], v[20:21], off offset:32
	;; [unrolled: 1-line block ×3, first 2 shown]
	global_load_dwordx2 v[42:43], v[20:21], off offset:64
	v_add_lshl_u32 v128, v131, v41, 3
	v_mov_b32_e32 v20, 0x82
	v_cmp_lt_u16_e64 s[0:1], 12, v41
	s_mov_b32 s14, 0x3f737871
	s_mov_b32 s12, 0x3f167918
	v_cndmask_b32_e64 v45, 0, v20, s[0:1]
	ds_read2_b64 v[20:23], v128 offset1:26
	ds_read2_b64 v[24:27], v128 offset0:52 offset1:78
	ds_read2_b64 v[28:31], v128 offset0:104 offset1:130
	;; [unrolled: 1-line block ×4, first 2 shown]
	v_add_u32_e32 v44, v44, v45
	v_add_lshl_u32 v129, v131, v44, 3
	s_mov_b32 s16, 0x3e9e377a
	s_mov_b32 s0, 0x3f4f1bbd
	s_waitcnt lgkmcnt(0)
	; wave barrier
	s_waitcnt lgkmcnt(0)
	s_mov_b32 s18, 0xbf737871
	s_mov_b32 s19, s14
	v_lshl_add_u32 v133, v41, 3, v132
	v_add_u32_e32 v80, v130, v132
	s_waitcnt vmcnt(4)
	v_pk_mul_f32 v[44:45], v[22:23], v[12:13] op_sel:[0,1]
	v_mov_b32_e32 v46, v15
	s_waitcnt vmcnt(3)
	v_pk_mul_f32 v[48:49], v[26:27], v[8:9] op_sel:[0,1]
	v_mov_b32_e32 v50, v11
	;; [unrolled: 3-line block ×4, first 2 shown]
	s_waitcnt vmcnt(0)
	v_pk_mul_f32 v[62:63], v[38:39], v[42:43] op_sel:[0,1]
	v_pk_fma_f32 v[64:65], v[22:23], v[12:13], v[44:45] op_sel:[0,0,1] op_sel_hi:[1,1,0] neg_lo:[0,0,1] neg_hi:[0,0,1]
	v_pk_fma_f32 v[22:23], v[22:23], v[12:13], v[44:45] op_sel:[0,0,1] op_sel_hi:[1,0,0]
	v_pk_mul_f32 v[44:45], v[24:25], v[46:47] op_sel_hi:[1,0]
	v_pk_fma_f32 v[46:47], v[26:27], v[8:9], v[48:49] op_sel:[0,0,1] op_sel_hi:[1,1,0] neg_lo:[0,0,1] neg_hi:[0,0,1]
	v_pk_fma_f32 v[26:27], v[26:27], v[8:9], v[48:49] op_sel:[0,0,1] op_sel_hi:[1,0,0]
	v_pk_mul_f32 v[48:49], v[28:29], v[50:51] op_sel_hi:[1,0]
	;; [unrolled: 3-line block ×4, first 2 shown]
	v_pk_fma_f32 v[60:61], v[38:39], v[42:43], v[62:63] op_sel:[0,0,1] op_sel_hi:[1,1,0] neg_lo:[0,0,1] neg_hi:[0,0,1]
	v_pk_fma_f32 v[38:39], v[38:39], v[42:43], v[62:63] op_sel:[0,0,1] op_sel_hi:[1,0,0]
	v_mov_b32_e32 v47, v27
	v_mov_b32_e32 v51, v31
	v_mov_b32_e32 v57, v35
	v_mov_b32_e32 v61, v39
	v_mov_b32_e32 v65, v23
	v_pk_add_f32 v[62:63], v[50:51], v[56:57]
	v_pk_add_f32 v[66:67], v[46:47], v[60:61] neg_lo:[0,1] neg_hi:[0,1]
	v_pk_fma_f32 v[22:23], v[24:25], v[14:15], v[44:45] op_sel:[0,0,1] op_sel_hi:[1,1,0] neg_lo:[0,0,1] neg_hi:[0,0,1]
	v_pk_fma_f32 v[24:25], v[24:25], v[14:15], v[44:45] op_sel:[0,0,1] op_sel_hi:[1,0,0]
	v_pk_fma_f32 v[26:27], v[28:29], v[10:11], v[48:49] op_sel:[0,0,1] op_sel_hi:[1,1,0] neg_lo:[0,0,1] neg_hi:[0,0,1]
	v_pk_fma_f32 v[28:29], v[28:29], v[10:11], v[48:49] op_sel:[0,0,1] op_sel_hi:[1,0,0]
	;; [unrolled: 2-line block ×4, first 2 shown]
	v_pk_fma_f32 v[62:63], v[62:63], 0.5, v[64:65] op_sel_hi:[1,0,1] neg_lo:[1,0,0] neg_hi:[1,0,0]
	v_pk_mul_f32 v[68:69], v[66:67], s[14:15] op_sel_hi:[1,0]
	v_pk_add_f32 v[70:71], v[50:51], v[56:57] neg_lo:[0,1] neg_hi:[0,1]
	v_pk_add_f32 v[74:75], v[46:47], v[50:51] neg_lo:[0,1] neg_hi:[0,1]
	;; [unrolled: 1-line block ×3, first 2 shown]
	v_mov_b32_e32 v23, v25
	v_mov_b32_e32 v27, v29
	;; [unrolled: 1-line block ×4, first 2 shown]
	v_pk_mul_f32 v[72:73], v[70:71], s[12:13] op_sel_hi:[1,0]
	v_pk_add_f32 v[74:75], v[74:75], v[76:77]
	v_pk_add_f32 v[76:77], v[62:63], v[68:69] op_sel:[0,1] op_sel_hi:[1,0]
	v_pk_add_f32 v[62:63], v[62:63], v[68:69] op_sel:[0,1] op_sel_hi:[1,0] neg_lo:[0,1] neg_hi:[0,1]
	v_pk_add_f32 v[32:33], v[26:27], v[30:31]
	v_pk_add_f32 v[36:37], v[22:23], v[34:35] neg_lo:[0,1] neg_hi:[0,1]
	v_pk_add_f32 v[62:63], v[62:63], v[72:73] op_sel:[0,1] op_sel_hi:[1,0] neg_lo:[0,1] neg_hi:[0,1]
	v_pk_add_f32 v[68:69], v[76:77], v[72:73] op_sel:[0,1] op_sel_hi:[1,0]
	v_pk_add_f32 v[38:39], v[26:27], v[30:31] neg_lo:[0,1] neg_hi:[0,1]
	v_pk_add_f32 v[44:45], v[22:23], v[26:27] neg_lo:[0,1] neg_hi:[0,1]
	;; [unrolled: 1-line block ×3, first 2 shown]
	v_pk_fma_f32 v[32:33], v[32:33], 0.5, v[20:21] op_sel_hi:[1,0,1] neg_lo:[1,0,0] neg_hi:[1,0,0]
	v_pk_mul_f32 v[52:53], v[36:37], s[14:15] op_sel_hi:[1,0]
	v_mov_b32_e32 v72, v68
	v_mov_b32_e32 v73, v63
	v_pk_add_f32 v[24:25], v[64:65], v[46:47]
	v_pk_add_f32 v[28:29], v[20:21], v[22:23]
	v_pk_mul_f32 v[58:59], v[38:39], s[12:13] op_sel_hi:[1,0]
	v_pk_add_f32 v[44:45], v[44:45], v[48:49]
	v_pk_add_f32 v[48:49], v[32:33], v[52:53] op_sel:[0,1] op_sel_hi:[1,0]
	v_pk_add_f32 v[32:33], v[32:33], v[52:53] op_sel:[0,1] op_sel_hi:[1,0] neg_lo:[0,1] neg_hi:[0,1]
	v_pk_fma_f32 v[72:73], v[74:75], s[16:17], v[72:73] op_sel_hi:[1,0,1]
	v_pk_add_f32 v[24:25], v[24:25], v[50:51]
	v_pk_add_f32 v[28:29], v[28:29], v[26:27]
	v_pk_add_f32 v[32:33], v[32:33], v[58:59] op_sel:[0,1] op_sel_hi:[1,0] neg_lo:[0,1] neg_hi:[0,1]
	v_pk_add_f32 v[48:49], v[48:49], v[58:59] op_sel:[0,1] op_sel_hi:[1,0]
	v_pk_mul_f32 v[76:77], v[72:73], s[12:13] op_sel_hi:[1,0]
	v_pk_add_f32 v[24:25], v[24:25], v[56:57]
	v_pk_add_f32 v[28:29], v[28:29], v[30:31]
	v_mov_b32_e32 v58, v48
	v_mov_b32_e32 v59, v33
	v_pk_fma_f32 v[78:79], v[72:73], s[0:1], v[76:77] op_sel:[0,0,1] op_sel_hi:[1,0,0]
	v_pk_fma_f32 v[72:73], v[72:73], s[0:1], v[76:77] op_sel:[0,0,1] op_sel_hi:[1,0,0] neg_lo:[0,0,1] neg_hi:[0,0,1]
	v_pk_add_f32 v[24:25], v[24:25], v[60:61]
	v_pk_add_f32 v[28:29], v[28:29], v[34:35]
	v_pk_fma_f32 v[58:59], v[44:45], s[16:17], v[58:59] op_sel_hi:[1,0,1]
	v_mov_b32_e32 v79, v73
	v_pk_add_f32 v[52:53], v[28:29], v[24:25]
	v_pk_add_f32 v[72:73], v[58:59], v[78:79]
	ds_write2_b64 v129, v[52:53], v[72:73] offset1:13
	v_pk_add_f32 v[52:53], v[22:23], v[34:35]
	v_pk_add_f32 v[22:23], v[26:27], v[22:23] neg_lo:[0,1] neg_hi:[0,1]
	v_pk_add_f32 v[26:27], v[30:31], v[34:35] neg_lo:[0,1] neg_hi:[0,1]
	;; [unrolled: 1-line block ×4, first 2 shown]
	v_pk_fma_f32 v[20:21], v[52:53], 0.5, v[20:21] op_sel_hi:[1,0,1] neg_lo:[1,0,0] neg_hi:[1,0,0]
	v_pk_add_f32 v[30:31], v[30:31], v[34:35]
	v_pk_mul_f32 v[34:35], v[38:39], s[14:15] op_sel_hi:[1,0]
	v_pk_add_f32 v[22:23], v[22:23], v[26:27]
	v_pk_add_f32 v[26:27], v[46:47], v[60:61]
	v_pk_mul_f32 v[36:37], v[36:37], s[12:13] op_sel_hi:[1,0]
	v_pk_add_f32 v[38:39], v[20:21], v[34:35] op_sel:[0,1] op_sel_hi:[1,0] neg_lo:[0,1] neg_hi:[0,1]
	v_pk_fma_f32 v[26:27], v[26:27], 0.5, v[64:65] op_sel_hi:[1,0,1] neg_lo:[1,0,0] neg_hi:[1,0,0]
	v_pk_add_f32 v[20:21], v[20:21], v[34:35] op_sel:[0,1] op_sel_hi:[1,0]
	v_pk_add_f32 v[34:35], v[38:39], v[36:37] op_sel:[0,1] op_sel_hi:[1,0]
	v_pk_mul_f32 v[38:39], v[70:71], s[14:15] op_sel_hi:[1,0]
	v_pk_mul_f32 v[46:47], v[66:67], s[12:13] op_sel_hi:[1,0]
	v_pk_add_f32 v[50:51], v[26:27], v[38:39] op_sel:[0,1] op_sel_hi:[1,0] neg_lo:[0,1] neg_hi:[0,1]
	v_pk_add_f32 v[26:27], v[26:27], v[38:39] op_sel:[0,1] op_sel_hi:[1,0]
	v_pk_add_f32 v[38:39], v[50:51], v[46:47] op_sel:[0,1] op_sel_hi:[1,0]
	v_pk_add_f32 v[26:27], v[26:27], v[46:47] op_sel:[0,1] op_sel_hi:[1,0] neg_lo:[0,1] neg_hi:[0,1]
	v_pk_add_f32 v[20:21], v[20:21], v[36:37] op_sel:[0,1] op_sel_hi:[1,0] neg_lo:[0,1] neg_hi:[0,1]
	v_mov_b32_e32 v46, v38
	v_mov_b32_e32 v47, v27
	v_mov_b32_e32 v36, v34
	v_mov_b32_e32 v37, v21
	v_pk_fma_f32 v[46:47], v[30:31], s[16:17], v[46:47] op_sel_hi:[1,0,1]
	v_mov_b32_e32 v21, v35
	v_mov_b32_e32 v27, v39
	v_pk_fma_f32 v[36:37], v[22:23], s[16:17], v[36:37] op_sel_hi:[1,0,1]
	v_pk_mul_f32 v[50:51], v[46:47], s[14:15] op_sel_hi:[1,0]
	v_pk_fma_f32 v[20:21], v[22:23], s[16:17], v[20:21] op_sel_hi:[1,0,1]
	v_pk_fma_f32 v[22:23], v[30:31], s[16:17], v[26:27] op_sel_hi:[1,0,1]
	v_pk_fma_f32 v[52:53], v[46:47], s[16:17], v[50:51] op_sel:[0,0,1] op_sel_hi:[1,0,0]
	v_pk_fma_f32 v[46:47], v[46:47], s[16:17], v[50:51] op_sel:[0,0,1] op_sel_hi:[1,0,0] neg_lo:[0,0,1] neg_hi:[0,0,1]
	v_pk_mul_f32 v[26:27], v[22:23], s[16:17] op_sel_hi:[1,0]
	v_mov_b32_e32 v53, v47
	v_pk_fma_f32 v[22:23], v[22:23], s[18:19], v[26:27] op_sel:[0,0,1] op_sel_hi:[1,1,0] neg_lo:[0,0,1] neg_hi:[0,0,1]
	v_mov_b32_e32 v63, v69
	v_pk_add_f32 v[46:47], v[36:37], v[52:53]
	v_pk_add_f32 v[26:27], v[20:21], v[22:23] op_sel:[0,1] op_sel_hi:[1,0]
	v_mov_b32_e32 v33, v49
	v_pk_fma_f32 v[30:31], v[74:75], s[16:17], v[62:63] op_sel_hi:[1,0,1]
	ds_write2_b64 v129, v[46:47], v[26:27] offset0:26 offset1:39
	v_pk_fma_f32 v[26:27], v[44:45], s[16:17], v[32:33] op_sel_hi:[1,0,1]
	s_mov_b32 s14, 0xbf167918
	s_mov_b32 s15, s12
	v_pk_mul_f32 v[32:33], v[30:31], s[0:1] op_sel_hi:[1,0]
	v_pk_add_f32 v[24:25], v[28:29], v[24:25] neg_lo:[0,1] neg_hi:[0,1]
	v_pk_fma_f32 v[30:31], v[30:31], s[14:15], v[32:33] op_sel:[0,0,1] op_sel_hi:[1,1,0] neg_lo:[0,0,1] neg_hi:[0,0,1]
	v_pk_add_f32 v[28:29], v[36:37], v[52:53] neg_lo:[0,1] neg_hi:[0,1]
	v_pk_add_f32 v[32:33], v[26:27], v[30:31] op_sel:[0,1] op_sel_hi:[1,0]
	ds_write2_b64 v129, v[32:33], v[24:25] offset0:52 offset1:65
	v_pk_add_f32 v[24:25], v[58:59], v[78:79] neg_lo:[0,1] neg_hi:[0,1]
	v_pk_add_f32 v[20:21], v[20:21], v[22:23] op_sel:[0,1] op_sel_hi:[1,0] neg_lo:[0,1] neg_hi:[0,1]
	v_pk_add_f32 v[22:23], v[26:27], v[30:31] op_sel:[0,1] op_sel_hi:[1,0] neg_lo:[0,1] neg_hi:[0,1]
	ds_write2_b64 v129, v[24:25], v[28:29] offset0:78 offset1:91
	ds_write2_b64 v129, v[20:21], v[22:23] offset0:104 offset1:117
	s_waitcnt lgkmcnt(0)
	; wave barrier
	s_waitcnt lgkmcnt(0)
	global_load_dwordx2 v[44:45], v130, s[10:11] offset:1144
	global_load_dwordx2 v[46:47], v130, s[10:11] offset:1352
	;; [unrolled: 1-line block ×5, first 2 shown]
	ds_read2_b64 v[20:23], v128 offset0:156 offset1:182
	ds_read2_b64 v[36:39], v128 offset0:104 offset1:130
	ds_read2_b64 v[26:29], v128 offset1:26
	ds_read2_b64 v[56:59], v128 offset0:52 offset1:78
	s_waitcnt vmcnt(4)
	v_mov_b32_e32 v24, v45
	s_waitcnt lgkmcnt(3)
	v_pk_mul_f32 v[24:25], v[20:21], v[24:25] op_sel:[1,0] op_sel_hi:[0,1]
	v_pk_fma_f32 v[24:25], v[20:21], v[44:45], v[24:25] neg_lo:[0,0,1] neg_hi:[0,0,1]
	v_pk_mul_f32 v[30:31], v[20:21], v[44:45] op_sel:[1,0] op_sel_hi:[0,1]
	v_mov_b32_e32 v25, v30
	v_pk_fma_f32 v[34:35], v[20:21], v[44:45], v[24:25] op_sel:[1,0,0] op_sel_hi:[0,1,1]
	s_waitcnt vmcnt(3)
	v_mov_b32_e32 v20, v47
	v_pk_mul_f32 v[20:21], v[22:23], v[20:21] op_sel:[1,0] op_sel_hi:[0,1]
	v_pk_fma_f32 v[60:61], v[22:23], v[46:47], v[20:21] neg_lo:[0,0,1] neg_hi:[0,0,1]
	v_pk_mul_f32 v[20:21], v[22:23], v[46:47] op_sel:[1,0] op_sel_hi:[0,1]
	v_mov_b32_e32 v21, v20
	v_pk_fma_f32 v[62:63], v[22:23], v[46:47], v[20:21] op_sel:[1,0,0] op_sel_hi:[0,1,1]
	s_waitcnt vmcnt(2) lgkmcnt(2)
	v_pk_mul_f32 v[20:21], v[38:39], v[52:53] op_sel:[0,1]
	ds_read2_b64 v[30:33], v128 offset0:208 offset1:234
	v_pk_fma_f32 v[22:23], v[38:39], v[52:53], v[20:21] op_sel:[0,0,1] op_sel_hi:[1,1,0] neg_lo:[0,0,1] neg_hi:[0,0,1]
	v_pk_fma_f32 v[20:21], v[38:39], v[52:53], v[20:21] op_sel:[0,0,1] op_sel_hi:[1,0,0]
	v_mov_b32_e32 v25, v35
	v_mov_b32_e32 v23, v21
	s_waitcnt lgkmcnt(2)
	v_pk_add_f32 v[22:23], v[26:27], v[22:23] neg_lo:[0,1] neg_hi:[0,1]
	v_mov_b32_e32 v61, v63
	v_pk_fma_f32 v[20:21], v[26:27], 2.0, v[22:23] op_sel_hi:[1,0,1] neg_lo:[0,0,1] neg_hi:[0,0,1]
	v_pk_add_f32 v[26:27], v[28:29], v[24:25] neg_lo:[0,1] neg_hi:[0,1]
	s_nop 0
	v_pk_fma_f32 v[24:25], v[28:29], 2.0, v[26:27] op_sel_hi:[1,0,1] neg_lo:[0,0,1] neg_hi:[0,0,1]
	s_waitcnt vmcnt(1) lgkmcnt(0)
	v_pk_mul_f32 v[28:29], v[30:31], v[48:49] op_sel:[0,1]
	s_nop 0
	v_pk_fma_f32 v[34:35], v[30:31], v[48:49], v[28:29] op_sel:[0,0,1] op_sel_hi:[1,1,0] neg_lo:[0,0,1] neg_hi:[0,0,1]
	v_pk_fma_f32 v[28:29], v[30:31], v[48:49], v[28:29] op_sel:[0,0,1] op_sel_hi:[1,0,0]
	v_pk_add_f32 v[30:31], v[56:57], v[60:61] neg_lo:[0,1] neg_hi:[0,1]
	v_mov_b32_e32 v35, v29
	s_waitcnt vmcnt(0)
	v_pk_mul_f32 v[28:29], v[32:33], v[50:51] op_sel:[0,1]
	v_pk_add_f32 v[34:35], v[58:59], v[34:35] neg_lo:[0,1] neg_hi:[0,1]
	v_pk_fma_f32 v[38:39], v[32:33], v[50:51], v[28:29] op_sel:[0,0,1] op_sel_hi:[1,1,0] neg_lo:[0,0,1] neg_hi:[0,0,1]
	v_pk_fma_f32 v[28:29], v[32:33], v[50:51], v[28:29] op_sel:[0,0,1] op_sel_hi:[1,0,0]
	v_pk_fma_f32 v[32:33], v[58:59], 2.0, v[34:35] op_sel_hi:[1,0,1] neg_lo:[0,0,1] neg_hi:[0,0,1]
	v_mov_b32_e32 v39, v29
	v_pk_add_f32 v[38:39], v[36:37], v[38:39] neg_lo:[0,1] neg_hi:[0,1]
	v_pk_fma_f32 v[28:29], v[56:57], 2.0, v[30:31] op_sel_hi:[1,0,1] neg_lo:[0,0,1] neg_hi:[0,0,1]
	v_pk_fma_f32 v[36:37], v[36:37], 2.0, v[38:39] op_sel_hi:[1,0,1] neg_lo:[0,0,1] neg_hi:[0,0,1]
	ds_write2_b64 v133, v[20:21], v[24:25] offset1:26
	ds_write2_b64 v133, v[26:27], v[30:31] offset0:156 offset1:182
	ds_write2_b64 v133, v[28:29], v[32:33] offset0:52 offset1:78
	ds_write_b64 v133, v[34:35] offset:1664
	ds_write2_b64 v133, v[36:37], v[22:23] offset0:104 offset1:130
	ds_write_b64 v80, v[38:39] offset:1872
	s_waitcnt lgkmcnt(0)
	; wave barrier
	s_waitcnt lgkmcnt(0)
	s_and_saveexec_b64 s[0:1], vcc
	s_cbranch_execz .LBB0_9
; %bb.8:
	global_load_dwordx2 v[84:85], v130, s[2:3] offset:2080
	s_add_u32 s10, s2, 0x820
	s_addc_u32 s11, s3, 0
	global_load_dwordx2 v[86:87], v130, s[10:11] offset:160
	global_load_dwordx2 v[88:89], v130, s[10:11] offset:320
	global_load_dwordx2 v[90:91], v130, s[10:11] offset:480
	global_load_dwordx2 v[92:93], v130, s[10:11] offset:640
	global_load_dwordx2 v[94:95], v130, s[10:11] offset:800
	global_load_dwordx2 v[96:97], v130, s[10:11] offset:960
	global_load_dwordx2 v[98:99], v130, s[10:11] offset:1120
	global_load_dwordx2 v[100:101], v130, s[10:11] offset:1280
	global_load_dwordx2 v[102:103], v130, s[10:11] offset:1440
	global_load_dwordx2 v[104:105], v130, s[10:11] offset:1600
	global_load_dwordx2 v[106:107], v130, s[10:11] offset:1760
	global_load_dwordx2 v[108:109], v130, s[10:11] offset:1920
	ds_read2_b64 v[56:59], v133 offset1:20
	ds_read2_b64 v[60:63], v133 offset0:40 offset1:60
	ds_read2_b64 v[64:67], v133 offset0:80 offset1:100
	;; [unrolled: 1-line block ×5, first 2 shown]
	ds_read_b64 v[110:111], v133 offset:1920
	s_waitcnt vmcnt(9) lgkmcnt(5)
	v_mul_f32_e32 v83, v63, v91
	s_waitcnt vmcnt(8) lgkmcnt(4)
	v_mul_f32_e32 v114, v65, v93
	s_waitcnt vmcnt(7)
	v_mul_f32_e32 v115, v67, v95
	s_waitcnt vmcnt(6) lgkmcnt(3)
	v_mul_f32_e32 v116, v69, v97
	s_waitcnt vmcnt(5)
	v_mul_f32_e32 v117, v71, v99
	s_waitcnt vmcnt(4) lgkmcnt(2)
	v_mul_f32_e32 v118, v73, v101
	v_mul_f32_e32 v81, v57, v85
	;; [unrolled: 1-line block ×3, first 2 shown]
	v_fma_f32 v112, v56, v84, -v81
	v_fmac_f32_e32 v113, v57, v84
	v_mul_f32_e32 v56, v59, v87
	v_mul_f32_e32 v57, v58, v87
	;; [unrolled: 1-line block ×10, first 2 shown]
	s_waitcnt vmcnt(3)
	v_mul_f32_e32 v119, v75, v103
	v_mul_f32_e32 v99, v74, v103
	s_waitcnt vmcnt(2) lgkmcnt(1)
	v_mul_f32_e32 v120, v77, v105
	v_mul_f32_e32 v101, v76, v105
	s_waitcnt vmcnt(1)
	v_mul_f32_e32 v121, v79, v107
	v_mul_f32_e32 v103, v78, v107
	s_waitcnt vmcnt(0) lgkmcnt(0)
	v_mul_f32_e32 v107, v111, v109
	v_mul_f32_e32 v105, v110, v109
	v_fma_f32 v56, v58, v86, -v56
	v_fmac_f32_e32 v57, v59, v86
	v_fma_f32 v84, v60, v88, -v81
	v_fmac_f32_e32 v85, v61, v88
	v_fma_f32 v86, v62, v90, -v83
	v_fmac_f32_e32 v87, v63, v90
	v_fma_f32 v88, v64, v92, -v114
	v_fmac_f32_e32 v89, v65, v92
	v_fma_f32 v90, v66, v94, -v115
	v_fmac_f32_e32 v91, v67, v94
	v_fma_f32 v92, v68, v96, -v116
	v_fmac_f32_e32 v93, v69, v96
	v_fma_f32 v94, v70, v98, -v117
	v_fmac_f32_e32 v95, v71, v98
	v_fma_f32 v96, v72, v100, -v118
	v_fmac_f32_e32 v97, v73, v100
	v_fma_f32 v98, v74, v102, -v119
	v_fmac_f32_e32 v99, v75, v102
	v_fma_f32 v100, v76, v104, -v120
	v_fmac_f32_e32 v101, v77, v104
	v_fma_f32 v102, v78, v106, -v121
	v_fmac_f32_e32 v103, v79, v106
	v_fma_f32 v104, v110, v108, -v107
	v_fmac_f32_e32 v105, v111, v108
	ds_write2_b64 v133, v[112:113], v[56:57] offset1:20
	ds_write2_b64 v133, v[84:85], v[86:87] offset0:40 offset1:60
	ds_write2_b64 v133, v[88:89], v[90:91] offset0:80 offset1:100
	;; [unrolled: 1-line block ×5, first 2 shown]
	ds_write_b64 v133, v[104:105] offset:1920
.LBB0_9:
	s_or_b64 exec, exec, s[0:1]
	s_waitcnt lgkmcnt(0)
	; wave barrier
	s_waitcnt lgkmcnt(0)
	s_and_saveexec_b64 s[0:1], vcc
	s_cbranch_execz .LBB0_11
; %bb.10:
	ds_read2_b64 v[20:23], v133 offset1:20
	ds_read2_b64 v[24:27], v133 offset0:40 offset1:60
	ds_read2_b64 v[28:31], v133 offset0:80 offset1:100
	;; [unrolled: 1-line block ×5, first 2 shown]
	ds_read_b64 v[54:55], v133 offset:1920
.LBB0_11:
	s_or_b64 exec, exec, s[0:1]
	v_mov_b32_e32 v78, v12
	v_mov_b32_e32 v79, v12
	;; [unrolled: 1-line block ×36, first 2 shown]
	v_add_u32_e32 v134, 0x340, v80
	s_waitcnt lgkmcnt(0)
	; wave barrier
	s_waitcnt lgkmcnt(0)
	s_and_saveexec_b64 s[0:1], vcc
	s_cbranch_execz .LBB0_13
; %bb.12:
	v_pk_add_f32 v[80:81], v[22:23], v[20:21]
	v_pk_add_f32 v[126:127], v[22:23], v[54:55] neg_lo:[0,1] neg_hi:[0,1]
	v_pk_add_f32 v[80:81], v[24:25], v[80:81]
	s_mov_b32 s10, 0xbeedf032
	v_pk_add_f32 v[80:81], v[26:27], v[80:81]
	v_pk_add_f32 v[124:125], v[54:55], v[22:23]
	v_pk_add_f32 v[80:81], v[28:29], v[80:81]
	v_pk_add_f32 v[122:123], v[24:25], v[18:19] neg_lo:[0,1] neg_hi:[0,1]
	v_pk_add_f32 v[80:81], v[30:31], v[80:81]
	v_pk_add_f32 v[120:121], v[18:19], v[24:25]
	;; [unrolled: 1-line block ×3, first 2 shown]
	s_mov_b32 s14, 0x3f62ad3f
	v_pk_add_f32 v[80:81], v[34:35], v[80:81]
	v_pk_add_f32 v[118:119], v[26:27], v[16:17] neg_lo:[0,1] neg_hi:[0,1]
	v_pk_add_f32 v[80:81], v[36:37], v[80:81]
	v_pk_add_f32 v[116:117], v[16:17], v[26:27]
	;; [unrolled: 1-line block ×3, first 2 shown]
	s_mov_b32 s24, 0xbf52af12
	v_pk_add_f32 v[80:81], v[16:17], v[80:81]
	s_mov_b32 s12, 0x3f116cb1
	v_pk_add_f32 v[80:81], v[18:19], v[80:81]
	v_pk_mul_f32 v[18:19], v[126:127], s[10:11] op_sel_hi:[1,0]
	v_pk_mul_f32 v[24:25], v[122:123], s[24:25] op_sel_hi:[1,0]
	v_pk_fma_f32 v[16:17], v[124:125], s[14:15], v[18:19] op_sel:[0,0,1] op_sel_hi:[1,0,0]
	v_pk_fma_f32 v[18:19], v[124:125], s[14:15], v[18:19] op_sel:[0,0,1] op_sel_hi:[1,0,0] neg_lo:[0,0,1] neg_hi:[0,0,1]
	v_mov_b32_e32 v22, v16
	v_mov_b32_e32 v23, v19
	v_pk_add_f32 v[26:27], v[20:21], v[22:23]
	v_pk_fma_f32 v[22:23], v[120:121], s[12:13], v[24:25] op_sel:[0,0,1] op_sel_hi:[1,0,0]
	v_pk_fma_f32 v[24:25], v[120:121], s[12:13], v[24:25] op_sel:[0,0,1] op_sel_hi:[1,0,0] neg_lo:[0,0,1] neg_hi:[0,0,1]
	v_pk_add_f32 v[114:115], v[28:29], v[38:39] neg_lo:[0,1] neg_hi:[0,1]
	v_pk_add_f32 v[112:113], v[38:39], v[28:29]
	v_mov_b32_e32 v28, v22
	v_mov_b32_e32 v29, v25
	s_mov_b32 s34, 0xbf7e222b
	v_pk_add_f32 v[110:111], v[30:31], v[36:37] neg_lo:[0,1] neg_hi:[0,1]
	v_pk_add_f32 v[108:109], v[36:37], v[30:31]
	v_pk_add_f32 v[30:31], v[28:29], v[26:27]
	s_mov_b32 s10, 0x3df6dbef
	v_pk_mul_f32 v[28:29], v[118:119], s[34:35] op_sel_hi:[1,0]
	v_pk_add_f32 v[106:107], v[32:33], v[34:35] neg_lo:[0,1] neg_hi:[0,1]
	v_pk_fma_f32 v[26:27], v[116:117], s[10:11], v[28:29] op_sel:[0,0,1] op_sel_hi:[1,0,0]
	v_pk_fma_f32 v[28:29], v[116:117], s[10:11], v[28:29] op_sel:[0,0,1] op_sel_hi:[1,0,0] neg_lo:[0,0,1] neg_hi:[0,0,1]
	v_pk_add_f32 v[104:105], v[34:35], v[32:33]
	v_mov_b32_e32 v32, v26
	v_mov_b32_e32 v33, v29
	s_mov_b32 s18, 0xbf6f5d39
	v_pk_add_f32 v[34:35], v[32:33], v[30:31]
	s_mov_b32 s16, 0xbeb58ec6
	v_pk_mul_f32 v[32:33], v[114:115], s[18:19] op_sel_hi:[1,0]
	s_mov_b32 s22, 0xbf29c268
	v_pk_fma_f32 v[30:31], v[112:113], s[16:17], v[32:33] op_sel:[0,0,1] op_sel_hi:[1,0,0]
	v_pk_fma_f32 v[32:33], v[112:113], s[16:17], v[32:33] op_sel:[0,0,1] op_sel_hi:[1,0,0] neg_lo:[0,0,1] neg_hi:[0,0,1]
	v_mov_b32_e32 v36, v30
	v_mov_b32_e32 v37, v33
	v_pk_add_f32 v[38:39], v[36:37], v[34:35]
	s_mov_b32 s20, 0xbf3f9e67
	v_pk_mul_f32 v[36:37], v[110:111], s[22:23] op_sel_hi:[1,0]
	v_pk_add_f32 v[80:81], v[54:55], v[80:81]
	v_pk_fma_f32 v[34:35], v[108:109], s[20:21], v[36:37] op_sel:[0,0,1] op_sel_hi:[1,0,0]
	v_pk_fma_f32 v[36:37], v[108:109], s[20:21], v[36:37] op_sel:[0,0,1] op_sel_hi:[1,0,0] neg_lo:[0,0,1] neg_hi:[0,0,1]
	v_mov_b32_e32 v54, v34
	v_mov_b32_e32 v55, v37
	s_mov_b32 s28, 0xbe750f2a
	v_lshl_add_u32 v132, v82, 3, v132
	v_pk_add_f32 v[82:83], v[54:55], v[38:39]
	s_mov_b32 s26, 0xbf788fa5
	v_pk_mul_f32 v[54:55], v[106:107], s[28:29] op_sel_hi:[1,0]
	v_pk_mul_f32 v[86:87], v[122:123], s[18:19] op_sel_hi:[1,0]
	v_pk_fma_f32 v[38:39], v[104:105], s[26:27], v[54:55] op_sel:[0,0,1] op_sel_hi:[1,0,0]
	v_pk_fma_f32 v[54:55], v[104:105], s[26:27], v[54:55] op_sel:[0,0,1] op_sel_hi:[1,0,0] neg_lo:[0,0,1] neg_hi:[0,0,1]
	v_mov_b32_e32 v84, v38
	v_mov_b32_e32 v85, v55
	v_pk_add_f32 v[82:83], v[84:85], v[82:83]
	ds_write2_b64 v132, v[80:81], v[82:83] offset1:1
	v_pk_mul_f32 v[82:83], v[126:127], s[24:25] op_sel_hi:[1,0]
	s_mov_b32 s38, 0x3f29c268
	v_pk_fma_f32 v[80:81], v[124:125], s[12:13], v[82:83] op_sel:[0,0,1] op_sel_hi:[1,0,0]
	v_pk_fma_f32 v[82:83], v[124:125], s[12:13], v[82:83] op_sel:[0,0,1] op_sel_hi:[1,0,0] neg_lo:[0,0,1] neg_hi:[0,0,1]
	v_mov_b32_e32 v84, v80
	v_mov_b32_e32 v85, v83
	v_pk_add_f32 v[88:89], v[20:21], v[84:85]
	v_pk_fma_f32 v[84:85], v[120:121], s[16:17], v[86:87] op_sel:[0,0,1] op_sel_hi:[1,0,0]
	v_pk_fma_f32 v[86:87], v[120:121], s[16:17], v[86:87] op_sel:[0,0,1] op_sel_hi:[1,0,0] neg_lo:[0,0,1] neg_hi:[0,0,1]
	v_mov_b32_e32 v90, v84
	v_mov_b32_e32 v91, v87
	v_pk_add_f32 v[92:93], v[90:91], v[88:89]
	v_pk_mul_f32 v[90:91], v[118:119], s[28:29] op_sel_hi:[1,0]
	s_mov_b32 s30, 0x3f7e222b
	v_pk_fma_f32 v[88:89], v[116:117], s[26:27], v[90:91] op_sel:[0,0,1] op_sel_hi:[1,0,0]
	v_pk_fma_f32 v[90:91], v[116:117], s[26:27], v[90:91] op_sel:[0,0,1] op_sel_hi:[1,0,0] neg_lo:[0,0,1] neg_hi:[0,0,1]
	v_mov_b32_e32 v94, v88
	v_mov_b32_e32 v95, v91
	v_pk_add_f32 v[96:97], v[94:95], v[92:93]
	v_pk_mul_f32 v[94:95], v[114:115], s[38:39] op_sel_hi:[1,0]
	s_mov_b32 s36, 0x3eedf032
	v_pk_fma_f32 v[92:93], v[112:113], s[20:21], v[94:95] op_sel:[0,0,1] op_sel_hi:[1,0,0]
	v_pk_fma_f32 v[94:95], v[112:113], s[20:21], v[94:95] op_sel:[0,0,1] op_sel_hi:[1,0,0] neg_lo:[0,0,1] neg_hi:[0,0,1]
	v_mov_b32_e32 v98, v92
	v_mov_b32_e32 v99, v95
	v_pk_add_f32 v[100:101], v[98:99], v[96:97]
	v_pk_mul_f32 v[98:99], v[110:111], s[30:31] op_sel_hi:[1,0]
	v_pk_mul_f32 v[144:145], v[122:123], s[28:29] op_sel_hi:[1,0]
	v_pk_fma_f32 v[96:97], v[108:109], s[10:11], v[98:99] op_sel:[0,0,1] op_sel_hi:[1,0,0]
	v_pk_fma_f32 v[98:99], v[108:109], s[10:11], v[98:99] op_sel:[0,0,1] op_sel_hi:[1,0,0] neg_lo:[0,0,1] neg_hi:[0,0,1]
	v_mov_b32_e32 v102, v96
	v_mov_b32_e32 v103, v99
	v_pk_add_f32 v[136:137], v[102:103], v[100:101]
	v_pk_mul_f32 v[102:103], v[106:107], s[36:37] op_sel_hi:[1,0]
	v_pk_fma_f32 v[146:147], v[120:121], s[26:27], v[144:145] op_sel:[0,0,1] op_sel_hi:[1,0,0]
	v_pk_fma_f32 v[100:101], v[104:105], s[14:15], v[102:103] op_sel:[0,0,1] op_sel_hi:[1,0,0]
	v_pk_fma_f32 v[102:103], v[104:105], s[14:15], v[102:103] op_sel:[0,0,1] op_sel_hi:[1,0,0] neg_lo:[0,0,1] neg_hi:[0,0,1]
	v_mov_b32_e32 v138, v100
	v_mov_b32_e32 v139, v103
	v_pk_add_f32 v[136:137], v[138:139], v[136:137]
	v_pk_mul_f32 v[138:139], v[126:127], s[34:35] op_sel_hi:[1,0]
	v_pk_fma_f32 v[144:145], v[120:121], s[26:27], v[144:145] op_sel:[0,0,1] op_sel_hi:[1,0,0] neg_lo:[0,0,1] neg_hi:[0,0,1]
	v_pk_fma_f32 v[140:141], v[124:125], s[10:11], v[138:139] op_sel:[0,0,1] op_sel_hi:[1,0,0]
	v_pk_fma_f32 v[138:139], v[124:125], s[10:11], v[138:139] op_sel:[0,0,1] op_sel_hi:[1,0,0] neg_lo:[0,0,1] neg_hi:[0,0,1]
	v_mov_b32_e32 v142, v140
	v_mov_b32_e32 v143, v139
	v_pk_add_f32 v[142:143], v[20:21], v[142:143]
	v_mov_b32_e32 v148, v146
	v_mov_b32_e32 v149, v145
	s_mov_b32 s40, 0x3f6f5d39
	v_pk_add_f32 v[142:143], v[148:149], v[142:143]
	v_pk_mul_f32 v[148:149], v[118:119], s[40:41] op_sel_hi:[1,0]
	v_pk_mul_f32 v[166:167], v[122:123], s[38:39] op_sel_hi:[1,0]
	v_pk_fma_f32 v[150:151], v[116:117], s[16:17], v[148:149] op_sel:[0,0,1] op_sel_hi:[1,0,0]
	v_pk_fma_f32 v[148:149], v[116:117], s[16:17], v[148:149] op_sel:[0,0,1] op_sel_hi:[1,0,0] neg_lo:[0,0,1] neg_hi:[0,0,1]
	v_mov_b32_e32 v152, v150
	v_mov_b32_e32 v153, v149
	v_pk_add_f32 v[142:143], v[152:153], v[142:143]
	v_pk_mul_f32 v[152:153], v[114:115], s[36:37] op_sel_hi:[1,0]
	v_pk_fma_f32 v[168:169], v[120:121], s[20:21], v[166:167] op_sel:[0,0,1] op_sel_hi:[1,0,0]
	v_pk_fma_f32 v[154:155], v[112:113], s[14:15], v[152:153] op_sel:[0,0,1] op_sel_hi:[1,0,0]
	v_pk_fma_f32 v[152:153], v[112:113], s[14:15], v[152:153] op_sel:[0,0,1] op_sel_hi:[1,0,0] neg_lo:[0,0,1] neg_hi:[0,0,1]
	v_mov_b32_e32 v156, v154
	v_mov_b32_e32 v157, v153
	v_pk_add_f32 v[142:143], v[156:157], v[142:143]
	v_pk_mul_f32 v[156:157], v[110:111], s[24:25] op_sel_hi:[1,0]
	v_pk_fma_f32 v[166:167], v[120:121], s[20:21], v[166:167] op_sel:[0,0,1] op_sel_hi:[1,0,0] neg_lo:[0,0,1] neg_hi:[0,0,1]
	v_pk_fma_f32 v[158:159], v[108:109], s[12:13], v[156:157] op_sel:[0,0,1] op_sel_hi:[1,0,0]
	v_pk_fma_f32 v[156:157], v[108:109], s[12:13], v[156:157] op_sel:[0,0,1] op_sel_hi:[1,0,0] neg_lo:[0,0,1] neg_hi:[0,0,1]
	v_mov_b32_e32 v160, v158
	v_mov_b32_e32 v161, v157
	v_pk_add_f32 v[142:143], v[160:161], v[142:143]
	v_pk_mul_f32 v[160:161], v[106:107], s[22:23] op_sel_hi:[1,0]
	v_mov_b32_e32 v170, v168
	v_pk_fma_f32 v[162:163], v[104:105], s[20:21], v[160:161] op_sel:[0,0,1] op_sel_hi:[1,0,0]
	v_pk_fma_f32 v[160:161], v[104:105], s[20:21], v[160:161] op_sel:[0,0,1] op_sel_hi:[1,0,0] neg_lo:[0,0,1] neg_hi:[0,0,1]
	v_mov_b32_e32 v164, v162
	v_mov_b32_e32 v165, v161
	v_pk_add_f32 v[142:143], v[164:165], v[142:143]
	ds_write2_b64 v132, v[136:137], v[142:143] offset0:2 offset1:3
	v_pk_mul_f32 v[136:137], v[126:127], s[18:19] op_sel_hi:[1,0]
	v_mov_b32_e32 v171, v167
	v_pk_fma_f32 v[142:143], v[124:125], s[16:17], v[136:137] op_sel:[0,0,1] op_sel_hi:[1,0,0]
	v_pk_fma_f32 v[136:137], v[124:125], s[16:17], v[136:137] op_sel:[0,0,1] op_sel_hi:[1,0,0] neg_lo:[0,0,1] neg_hi:[0,0,1]
	v_mov_b32_e32 v164, v142
	v_mov_b32_e32 v165, v137
	v_pk_add_f32 v[164:165], v[20:21], v[164:165]
	s_mov_b32 s38, 0x3f52af12
	v_pk_add_f32 v[164:165], v[170:171], v[164:165]
	v_pk_mul_f32 v[170:171], v[118:119], s[36:37] op_sel_hi:[1,0]
	v_pk_mul_f32 v[192:193], v[122:123], s[30:31] op_sel_hi:[1,0]
	v_pk_fma_f32 v[172:173], v[116:117], s[14:15], v[170:171] op_sel:[0,0,1] op_sel_hi:[1,0,0]
	v_pk_fma_f32 v[170:171], v[116:117], s[14:15], v[170:171] op_sel:[0,0,1] op_sel_hi:[1,0,0] neg_lo:[0,0,1] neg_hi:[0,0,1]
	v_mov_b32_e32 v174, v172
	v_mov_b32_e32 v175, v171
	v_pk_add_f32 v[164:165], v[174:175], v[164:165]
	v_pk_mul_f32 v[174:175], v[114:115], s[34:35] op_sel_hi:[1,0]
	s_mov_b32 s34, 0x3e750f2a
	v_pk_fma_f32 v[176:177], v[112:113], s[10:11], v[174:175] op_sel:[0,0,1] op_sel_hi:[1,0,0]
	v_pk_fma_f32 v[174:175], v[112:113], s[10:11], v[174:175] op_sel:[0,0,1] op_sel_hi:[1,0,0] neg_lo:[0,0,1] neg_hi:[0,0,1]
	v_mov_b32_e32 v178, v176
	v_mov_b32_e32 v179, v175
	v_pk_add_f32 v[164:165], v[178:179], v[164:165]
	v_pk_mul_f32 v[178:179], v[110:111], s[34:35] op_sel_hi:[1,0]
	v_pk_fma_f32 v[194:195], v[120:121], s[10:11], v[192:193] op_sel:[0,0,1] op_sel_hi:[1,0,0]
	v_pk_fma_f32 v[180:181], v[108:109], s[26:27], v[178:179] op_sel:[0,0,1] op_sel_hi:[1,0,0]
	v_pk_fma_f32 v[178:179], v[108:109], s[26:27], v[178:179] op_sel:[0,0,1] op_sel_hi:[1,0,0] neg_lo:[0,0,1] neg_hi:[0,0,1]
	v_mov_b32_e32 v182, v180
	v_mov_b32_e32 v183, v179
	v_pk_add_f32 v[164:165], v[182:183], v[164:165]
	v_pk_mul_f32 v[182:183], v[106:107], s[38:39] op_sel_hi:[1,0]
	v_pk_fma_f32 v[192:193], v[120:121], s[10:11], v[192:193] op_sel:[0,0,1] op_sel_hi:[1,0,0] neg_lo:[0,0,1] neg_hi:[0,0,1]
	v_pk_fma_f32 v[184:185], v[104:105], s[12:13], v[182:183] op_sel:[0,0,1] op_sel_hi:[1,0,0]
	v_pk_fma_f32 v[182:183], v[104:105], s[12:13], v[182:183] op_sel:[0,0,1] op_sel_hi:[1,0,0] neg_lo:[0,0,1] neg_hi:[0,0,1]
	v_mov_b32_e32 v186, v184
	v_mov_b32_e32 v187, v183
	v_pk_add_f32 v[164:165], v[186:187], v[164:165]
	v_pk_mul_f32 v[186:187], v[126:127], s[22:23] op_sel_hi:[1,0]
	v_mov_b32_e32 v196, v194
	v_pk_fma_f32 v[188:189], v[124:125], s[20:21], v[186:187] op_sel:[0,0,1] op_sel_hi:[1,0,0]
	v_pk_fma_f32 v[186:187], v[124:125], s[20:21], v[186:187] op_sel:[0,0,1] op_sel_hi:[1,0,0] neg_lo:[0,0,1] neg_hi:[0,0,1]
	v_mov_b32_e32 v190, v188
	v_mov_b32_e32 v191, v187
	v_pk_add_f32 v[190:191], v[20:21], v[190:191]
	v_mov_b32_e32 v197, v193
	v_pk_add_f32 v[190:191], v[196:197], v[190:191]
	v_pk_mul_f32 v[196:197], v[118:119], s[24:25] op_sel_hi:[1,0]
	v_pk_mul_f32 v[126:127], v[126:127], s[28:29] op_sel_hi:[1,0]
	v_pk_fma_f32 v[198:199], v[116:117], s[12:13], v[196:197] op_sel:[0,0,1] op_sel_hi:[1,0,0]
	v_pk_fma_f32 v[196:197], v[116:117], s[12:13], v[196:197] op_sel:[0,0,1] op_sel_hi:[1,0,0] neg_lo:[0,0,1] neg_hi:[0,0,1]
	v_mov_b32_e32 v200, v198
	v_mov_b32_e32 v201, v197
	v_pk_add_f32 v[190:191], v[200:201], v[190:191]
	v_pk_mul_f32 v[200:201], v[114:115], s[34:35] op_sel_hi:[1,0]
	v_pk_mul_f32 v[122:123], v[122:123], s[36:37] op_sel_hi:[1,0]
	v_pk_fma_f32 v[202:203], v[112:113], s[26:27], v[200:201] op_sel:[0,0,1] op_sel_hi:[1,0,0]
	v_pk_fma_f32 v[200:201], v[112:113], s[26:27], v[200:201] op_sel:[0,0,1] op_sel_hi:[1,0,0] neg_lo:[0,0,1] neg_hi:[0,0,1]
	v_mov_b32_e32 v204, v202
	;; [unrolled: 7-line block ×4, first 2 shown]
	v_mov_b32_e32 v213, v209
	v_pk_add_f32 v[190:191], v[212:213], v[190:191]
	ds_write2_b64 v132, v[164:165], v[190:191] offset0:4 offset1:5
	v_pk_fma_f32 v[164:165], v[124:125], s[26:27], v[126:127] op_sel:[0,0,1] op_sel_hi:[1,0,0]
	v_pk_fma_f32 v[124:125], v[124:125], s[26:27], v[126:127] op_sel:[0,0,1] op_sel_hi:[1,0,0] neg_lo:[0,0,1] neg_hi:[0,0,1]
	v_pk_fma_f32 v[126:127], v[120:121], s[14:15], v[122:123] op_sel:[0,0,1] op_sel_hi:[1,0,0]
	v_pk_fma_f32 v[120:121], v[120:121], s[14:15], v[122:123] op_sel:[0,0,1] op_sel_hi:[1,0,0] neg_lo:[0,0,1] neg_hi:[0,0,1]
	v_mov_b32_e32 v122, v164
	v_mov_b32_e32 v123, v125
	v_pk_add_f32 v[122:123], v[20:21], v[122:123]
	v_mov_b32_e32 v190, v126
	v_mov_b32_e32 v191, v121
	v_pk_add_f32 v[122:123], v[190:191], v[122:123]
	v_pk_fma_f32 v[190:191], v[116:117], s[20:21], v[118:119] op_sel:[0,0,1] op_sel_hi:[1,0,0]
	v_pk_fma_f32 v[116:117], v[116:117], s[20:21], v[118:119] op_sel:[0,0,1] op_sel_hi:[1,0,0] neg_lo:[0,0,1] neg_hi:[0,0,1]
	v_mov_b32_e32 v118, v190
	v_mov_b32_e32 v119, v117
	v_pk_add_f32 v[118:119], v[118:119], v[122:123]
	v_pk_fma_f32 v[122:123], v[112:113], s[12:13], v[114:115] op_sel:[0,0,1] op_sel_hi:[1,0,0]
	v_pk_fma_f32 v[112:113], v[112:113], s[12:13], v[114:115] op_sel:[0,0,1] op_sel_hi:[1,0,0] neg_lo:[0,0,1] neg_hi:[0,0,1]
	v_mov_b32_e32 v114, v122
	v_mov_b32_e32 v115, v113
	v_pk_mul_f32 v[110:111], v[110:111], s[18:19] op_sel_hi:[1,0]
	v_pk_add_f32 v[114:115], v[114:115], v[118:119]
	v_pk_fma_f32 v[118:119], v[108:109], s[16:17], v[110:111] op_sel:[0,0,1] op_sel_hi:[1,0,0]
	v_pk_fma_f32 v[108:109], v[108:109], s[16:17], v[110:111] op_sel:[0,0,1] op_sel_hi:[1,0,0] neg_lo:[0,0,1] neg_hi:[0,0,1]
	v_mov_b32_e32 v110, v118
	v_mov_b32_e32 v111, v109
	v_pk_mul_f32 v[106:107], v[106:107], s[30:31] op_sel_hi:[1,0]
	v_pk_add_f32 v[110:111], v[110:111], v[114:115]
	v_pk_fma_f32 v[114:115], v[104:105], s[10:11], v[106:107] op_sel:[0,0,1] op_sel_hi:[1,0,0]
	v_pk_fma_f32 v[104:105], v[104:105], s[10:11], v[106:107] op_sel:[0,0,1] op_sel_hi:[1,0,0] neg_lo:[0,0,1] neg_hi:[0,0,1]
	v_mov_b32_e32 v106, v114
	v_mov_b32_e32 v107, v105
	;; [unrolled: 1-line block ×3, first 2 shown]
	v_pk_add_f32 v[106:107], v[106:107], v[110:111]
	v_mov_b32_e32 v121, v127
	v_pk_add_f32 v[110:111], v[20:21], v[124:125]
	v_mov_b32_e32 v117, v191
	;; [unrolled: 2-line block ×7, first 2 shown]
	ds_write2_b64 v132, v[106:107], v[104:105] offset0:6 offset1:7
	v_mov_b32_e32 v193, v195
	v_pk_add_f32 v[104:105], v[20:21], v[186:187]
	v_pk_add_f32 v[106:107], v[20:21], v[136:137]
	v_mov_b32_e32 v167, v169
	v_pk_add_f32 v[104:105], v[192:193], v[104:105]
	v_mov_b32_e32 v197, v199
	;; [unrolled: 2-line block ×9, first 2 shown]
	v_pk_add_f32 v[104:105], v[208:209], v[104:105]
	v_pk_add_f32 v[106:107], v[182:183], v[106:107]
	v_mov_b32_e32 v139, v141
	v_mov_b32_e32 v83, v81
	;; [unrolled: 1-line block ×3, first 2 shown]
	ds_write2_b64 v132, v[104:105], v[106:107] offset0:8 offset1:9
	v_pk_add_f32 v[104:105], v[20:21], v[138:139]
	v_mov_b32_e32 v145, v147
	v_pk_add_f32 v[80:81], v[20:21], v[82:83]
	v_mov_b32_e32 v87, v85
	;; [unrolled: 2-line block ×15, first 2 shown]
	v_pk_add_f32 v[104:105], v[160:161], v[104:105]
	v_pk_add_f32 v[80:81], v[102:103], v[80:81]
	;; [unrolled: 1-line block ×3, first 2 shown]
	ds_write2_b64 v132, v[104:105], v[80:81] offset0:10 offset1:11
	ds_write_b64 v132, v[16:17] offset:96
.LBB0_13:
	s_or_b64 exec, exec, s[0:1]
	s_waitcnt lgkmcnt(0)
	; wave barrier
	s_waitcnt lgkmcnt(0)
	ds_read2_b64 v[16:19], v128 offset1:26
	ds_read2_b64 v[20:23], v128 offset0:52 offset1:78
	ds_read2_b64 v[24:27], v128 offset0:104 offset1:130
	;; [unrolled: 1-line block ×4, first 2 shown]
	s_waitcnt lgkmcnt(4)
	v_pk_mul_f32 v[12:13], v[12:13], v[18:19]
	s_waitcnt lgkmcnt(3)
	v_pk_mul_f32 v[14:15], v[14:15], v[20:21]
	;; [unrolled: 2-line block ×3, first 2 shown]
	v_pk_fma_f32 v[36:37], v[78:79], v[18:19], v[12:13] op_sel:[0,0,1] op_sel_hi:[1,1,0]
	s_waitcnt lgkmcnt(0)
	v_pk_mul_f32 v[2:3], v[2:3], v[32:33]
	v_pk_fma_f32 v[12:13], v[78:79], v[18:19], v[12:13] op_sel:[0,0,1] op_sel_hi:[1,1,0] neg_lo:[0,0,1] neg_hi:[0,0,1]
	v_pk_fma_f32 v[18:19], v[76:77], v[20:21], v[14:15] op_sel:[0,0,1] op_sel_hi:[1,1,0]
	v_pk_fma_f32 v[14:15], v[76:77], v[20:21], v[14:15] op_sel:[0,0,1] op_sel_hi:[1,1,0] neg_lo:[0,0,1] neg_hi:[0,0,1]
	v_pk_mul_f32 v[8:9], v[8:9], v[22:23]
	v_pk_fma_f32 v[20:21], v[72:73], v[24:25], v[10:11] op_sel:[0,0,1] op_sel_hi:[1,1,0]
	v_pk_fma_f32 v[10:11], v[72:73], v[24:25], v[10:11] op_sel:[0,0,1] op_sel_hi:[1,1,0] neg_lo:[0,0,1] neg_hi:[0,0,1]
	v_pk_mul_f32 v[6:7], v[6:7], v[28:29]
	v_pk_fma_f32 v[24:25], v[64:65], v[32:33], v[2:3] op_sel:[0,0,1] op_sel_hi:[1,1,0]
	v_pk_fma_f32 v[2:3], v[64:65], v[32:33], v[2:3] op_sel:[0,0,1] op_sel_hi:[1,1,0] neg_lo:[0,0,1] neg_hi:[0,0,1]
	v_mov_b32_e32 v19, v15
	v_pk_fma_f32 v[14:15], v[74:75], v[22:23], v[8:9] op_sel:[0,0,1] op_sel_hi:[1,1,0]
	v_pk_fma_f32 v[8:9], v[74:75], v[22:23], v[8:9] op_sel:[0,0,1] op_sel_hi:[1,1,0] neg_lo:[0,0,1] neg_hi:[0,0,1]
	v_pk_mul_f32 v[4:5], v[4:5], v[26:27]
	v_pk_fma_f32 v[22:23], v[68:69], v[28:29], v[6:7] op_sel:[0,0,1] op_sel_hi:[1,1,0]
	v_pk_fma_f32 v[6:7], v[68:69], v[28:29], v[6:7] op_sel:[0,0,1] op_sel_hi:[1,1,0] neg_lo:[0,0,1] neg_hi:[0,0,1]
	v_pk_mul_f32 v[0:1], v[0:1], v[30:31]
	v_mov_b32_e32 v25, v3
	v_pk_mul_f32 v[2:3], v[42:43], v[34:35]
	v_mov_b32_e32 v21, v11
	v_pk_fma_f32 v[10:11], v[70:71], v[26:27], v[4:5] op_sel:[0,0,1] op_sel_hi:[1,1,0]
	v_pk_fma_f32 v[4:5], v[70:71], v[26:27], v[4:5] op_sel:[0,0,1] op_sel_hi:[1,1,0] neg_lo:[0,0,1] neg_hi:[0,0,1]
	v_mov_b32_e32 v23, v7
	v_pk_fma_f32 v[6:7], v[66:67], v[30:31], v[0:1] op_sel:[0,0,1] op_sel_hi:[1,1,0]
	v_pk_fma_f32 v[26:27], v[62:63], v[34:35], v[2:3] op_sel:[0,0,1] op_sel_hi:[1,1,0]
	v_mov_b32_e32 v38, v14
	v_mov_b32_e32 v39, v26
	;; [unrolled: 1-line block ×4, first 2 shown]
	v_pk_fma_f32 v[0:1], v[66:67], v[30:31], v[0:1] op_sel:[0,0,1] op_sel_hi:[1,1,0] neg_lo:[0,0,1] neg_hi:[0,0,1]
	v_pk_add_f32 v[54:55], v[38:39], v[42:43] neg_lo:[0,1] neg_hi:[0,1]
	v_mov_b32_e32 v11, v5
	v_mov_b32_e32 v7, v1
	v_pk_fma_f32 v[2:3], v[62:63], v[34:35], v[2:3] op_sel:[0,0,1] op_sel_hi:[1,1,0] neg_lo:[0,0,1] neg_hi:[0,0,1]
	v_mov_b32_e32 v0, v55
	v_mov_b32_e32 v15, v9
	;; [unrolled: 1-line block ×3, first 2 shown]
	v_pk_add_f32 v[30:31], v[10:11], v[6:7]
	v_pk_add_f32 v[34:35], v[10:11], v[6:7] neg_lo:[0,1] neg_hi:[0,1]
	v_pk_add_f32 v[54:55], v[54:55], v[0:1]
	s_mov_b32 s0, 0x3e9e377a
	v_fma_f32 v2, -0.5, v30, v36
	v_pk_add_f32 v[32:33], v[14:15], v[26:27] neg_lo:[0,1] neg_hi:[0,1]
	v_mov_b32_e32 v55, v35
	s_mov_b32 s1, 0x3f167918
	v_fmamk_f32 v4, v33, 0xbf737871, v2
	v_pk_mul_f32 v[54:55], v[54:55], s[0:1]
	v_fmac_f32_e32 v2, 0x3f737871, v33
	v_sub_f32_e32 v0, v4, v55
	v_add_f32_e32 v4, v54, v0
	v_add_f32_e32 v0, v55, v2
	v_pk_add_f32 v[38:39], v[42:43], v[38:39] neg_lo:[0,1] neg_hi:[0,1]
	v_add_f32_e32 v8, v54, v0
	v_mov_b32_e32 v0, v39
	v_pk_add_f32 v[54:55], v[14:15], v[26:27]
	v_mov_b32_e32 v2, v36
	v_pk_add_f32 v[38:39], v[38:39], v[0:1]
	v_fmac_f32_e32 v2, -0.5, v54
	v_mov_b32_e32 v39, v33
	v_fmamk_f32 v12, v35, 0x3f737871, v2
	v_pk_mul_f32 v[38:39], v[38:39], s[0:1]
	v_mov_b32_e32 v37, v13
	v_sub_f32_e32 v0, v12, v39
	v_fmac_f32_e32 v2, 0xbf737871, v35
	v_add_f32_e32 v12, v38, v0
	v_add_f32_e32 v0, v39, v2
	v_pk_add_f32 v[14:15], v[36:37], v[14:15]
	v_add_f32_e32 v30, v38, v0
	v_pk_add_f32 v[10:11], v[14:15], v[10:11]
	v_mov_b32_e32 v2, v9
	v_mov_b32_e32 v0, v5
	v_pk_add_f32 v[6:7], v[10:11], v[6:7]
	v_pk_add_f32 v[10:11], v[2:3], v[0:1] neg_lo:[0,1] neg_hi:[0,1]
	v_fma_f32 v15, -0.5, v31, v13
	v_mov_b32_e32 v14, v11
	v_pk_add_f32 v[10:11], v[10:11], v[14:15]
	v_pk_add_f32 v[6:7], v[6:7], v[26:27]
	v_mov_b32_e32 v11, v34
	v_fmamk_f32 v26, v32, 0x3f737871, v15
	v_pk_mul_f32 v[10:11], v[10:11], s[0:1]
	v_pk_add_f32 v[0:1], v[0:1], v[2:3] neg_lo:[0,1] neg_hi:[0,1]
	v_add_f32_e32 v5, v11, v26
	v_fmac_f32_e32 v15, 0xbf737871, v32
	v_mov_b32_e32 v2, v1
	v_add_f32_e32 v14, v10, v5
	v_sub_f32_e32 v5, v15, v11
	v_fmac_f32_e32 v13, -0.5, v55
	v_pk_add_f32 v[0:1], v[0:1], v[2:3]
	s_mov_b32 s10, 0x3f737871
	v_add_f32_e32 v10, v10, v5
	v_fmamk_f32 v5, v34, 0xbf737871, v13
	v_mov_b32_e32 v1, v32
	v_fmac_f32_e32 v13, 0x3f737871, v34
	v_pk_add_f32 v[32:33], v[20:21], v[22:23]
	v_pk_add_f32 v[34:35], v[18:19], v[24:25] neg_lo:[0,1] neg_hi:[0,1]
	v_pk_fma_f32 v[32:33], v[32:33], 0.5, v[16:17] op_sel_hi:[1,0,1] neg_lo:[1,0,0] neg_hi:[1,0,0]
	v_pk_mul_f32 v[36:37], v[34:35], s[10:11] op_sel_hi:[1,0]
	v_pk_add_f32 v[38:39], v[20:21], v[22:23] neg_lo:[0,1] neg_hi:[0,1]
	s_mov_b32 s12, s1
	v_pk_add_f32 v[54:55], v[18:19], v[20:21] neg_lo:[0,1] neg_hi:[0,1]
	v_pk_add_f32 v[62:63], v[24:25], v[22:23] neg_lo:[0,1] neg_hi:[0,1]
	s_mov_b32 s14, 0x3f4f1bbd
	v_pk_add_f32 v[28:29], v[16:17], v[18:19]
	v_pk_mul_f32 v[42:43], v[38:39], s[12:13] op_sel_hi:[1,0]
	v_pk_add_f32 v[54:55], v[54:55], v[62:63]
	v_pk_add_f32 v[62:63], v[32:33], v[36:37] op_sel:[0,1] op_sel_hi:[1,0] neg_lo:[0,1] neg_hi:[0,1]
	v_pk_add_f32 v[32:33], v[32:33], v[36:37] op_sel:[0,1] op_sel_hi:[1,0]
	s_mov_b32 s16, s1
	s_mov_b32 s17, s14
	v_pk_add_f32 v[28:29], v[28:29], v[20:21]
	v_pk_mul_f32 v[0:1], v[0:1], s[0:1]
	v_pk_add_f32 v[32:33], v[32:33], v[42:43] op_sel:[0,1] op_sel_hi:[1,0]
	v_pk_add_f32 v[36:37], v[62:63], v[42:43] op_sel:[0,1] op_sel_hi:[1,0] neg_lo:[0,1] neg_hi:[0,1]
	s_mov_b32 s15, s1
	v_pk_mul_f32 v[14:15], v[14:15], s[16:17] op_sel_hi:[0,1]
	v_pk_add_f32 v[28:29], v[28:29], v[22:23]
	v_add_f32_e32 v2, v1, v5
	v_mov_b32_e32 v42, v36
	v_mov_b32_e32 v43, v33
	v_pk_fma_f32 v[62:63], v[4:5], s[14:15], v[14:15] neg_lo:[0,0,1] neg_hi:[0,0,1]
	v_pk_fma_f32 v[4:5], v[4:5], s[14:15], v[14:15] op_sel_hi:[0,1,1]
	v_pk_add_f32 v[28:29], v[28:29], v[24:25]
	v_pk_fma_f32 v[42:43], v[54:55], s[0:1], v[42:43] op_sel_hi:[1,0,1]
	v_mov_b32_e32 v63, v5
	v_pk_add_f32 v[26:27], v[28:29], v[6:7]
	v_pk_add_f32 v[4:5], v[42:43], v[62:63]
	v_add_f32_e32 v2, v0, v2
	s_waitcnt lgkmcnt(0)
	; wave barrier
	ds_write2_b64 v129, v[26:27], v[4:5] offset1:13
	v_pk_add_f32 v[4:5], v[18:19], v[24:25]
	s_mov_b32 s11, s0
	v_pk_fma_f32 v[4:5], v[4:5], 0.5, v[16:17] op_sel_hi:[1,0,1] neg_lo:[1,0,0] neg_hi:[1,0,0]
	v_pk_add_f32 v[14:15], v[20:21], v[18:19] neg_lo:[0,1] neg_hi:[0,1]
	v_pk_add_f32 v[16:17], v[22:23], v[24:25] neg_lo:[0,1] neg_hi:[0,1]
	s_mov_b32 s14, s0
	s_mov_b32 s15, s10
	v_pk_mul_f32 v[2:3], v[2:3], s[10:11] op_sel_hi:[0,1]
	v_pk_add_f32 v[14:15], v[14:15], v[16:17]
	v_pk_fma_f32 v[16:17], v[12:13], s[14:15], v[2:3] neg_lo:[0,0,1] neg_hi:[0,0,1]
	v_pk_fma_f32 v[2:3], v[12:13], s[14:15], v[2:3] op_sel_hi:[0,1,1]
	v_mov_b32_e32 v17, v3
	v_pk_mul_f32 v[2:3], v[38:39], s[10:11] op_sel_hi:[1,0]
	v_sub_f32_e32 v1, v13, v1
	v_pk_mul_f32 v[12:13], v[34:35], s[12:13] op_sel_hi:[1,0]
	v_pk_add_f32 v[18:19], v[4:5], v[2:3] op_sel:[0,1] op_sel_hi:[1,0]
	v_pk_add_f32 v[2:3], v[4:5], v[2:3] op_sel:[0,1] op_sel_hi:[1,0] neg_lo:[0,1] neg_hi:[0,1]
	v_add_f32_e32 v0, v0, v1
	v_pk_add_f32 v[2:3], v[2:3], v[12:13] op_sel:[0,1] op_sel_hi:[1,0]
	v_pk_add_f32 v[4:5], v[18:19], v[12:13] op_sel:[0,1] op_sel_hi:[1,0] neg_lo:[0,1] neg_hi:[0,1]
	v_mov_b32_e32 v13, v3
	v_mov_b32_e32 v12, v4
	s_mov_b32 s12, 0xbe9e377a
	s_mov_b32 s13, s10
	v_pk_mul_f32 v[0:1], v[0:1], s[10:11] op_sel_hi:[0,1]
	v_mov_b32_e32 v3, v5
	v_pk_fma_f32 v[12:13], v[14:15], s[0:1], v[12:13] op_sel_hi:[1,0,1]
	v_pk_fma_f32 v[0:1], v[30:31], s[12:13], v[0:1] op_sel_hi:[0,1,1] neg_lo:[0,0,1] neg_hi:[0,0,1]
	v_pk_fma_f32 v[2:3], v[14:15], s[0:1], v[2:3] op_sel_hi:[1,0,1]
	v_pk_add_f32 v[18:19], v[12:13], v[16:17]
	v_pk_add_f32 v[4:5], v[2:3], v[0:1]
	ds_write2_b64 v129, v[18:19], v[4:5] offset0:26 offset1:39
	s_mov_b32 s10, 0xbf4f1bbd
	s_mov_b32 s11, s1
	v_pk_mul_f32 v[4:5], v[10:11], s[16:17] op_sel_hi:[0,1]
	v_mov_b32_e32 v33, v37
	v_pk_fma_f32 v[4:5], v[8:9], s[10:11], v[4:5] op_sel_hi:[0,1,1] neg_lo:[0,0,1] neg_hi:[0,0,1]
	v_pk_fma_f32 v[8:9], v[54:55], s[0:1], v[32:33] op_sel_hi:[1,0,1]
	v_pk_add_f32 v[6:7], v[28:29], v[6:7] neg_lo:[0,1] neg_hi:[0,1]
	v_pk_add_f32 v[10:11], v[8:9], v[4:5]
	ds_write2_b64 v129, v[10:11], v[6:7] offset0:52 offset1:65
	v_pk_add_f32 v[6:7], v[42:43], v[62:63] neg_lo:[0,1] neg_hi:[0,1]
	v_pk_add_f32 v[10:11], v[12:13], v[16:17] neg_lo:[0,1] neg_hi:[0,1]
	;; [unrolled: 1-line block ×4, first 2 shown]
	ds_write2_b64 v129, v[6:7], v[10:11] offset0:78 offset1:91
	ds_write2_b64 v129, v[0:1], v[2:3] offset0:104 offset1:117
	s_waitcnt lgkmcnt(0)
	; wave barrier
	s_waitcnt lgkmcnt(0)
	ds_read2_b64 v[0:3], v128 offset0:104 offset1:130
	ds_read2_b64 v[4:7], v128 offset1:26
	ds_read2_b64 v[8:11], v128 offset0:208 offset1:234
	s_waitcnt lgkmcnt(2)
	v_pk_mul_f32 v[12:13], v[52:53], v[2:3]
	s_nop 0
	v_pk_fma_f32 v[14:15], v[60:61], v[2:3], v[12:13] op_sel:[0,0,1] op_sel_hi:[1,1,0]
	v_pk_fma_f32 v[2:3], v[60:61], v[2:3], v[12:13] op_sel:[0,0,1] op_sel_hi:[1,1,0] neg_lo:[0,0,1] neg_hi:[0,0,1]
	s_waitcnt lgkmcnt(0)
	v_pk_mul_f32 v[16:17], v[50:51], v[10:11]
	v_mov_b32_e32 v15, v3
	v_pk_add_f32 v[12:13], v[4:5], v[14:15] neg_lo:[0,1] neg_hi:[0,1]
	v_pk_fma_f32 v[18:19], v[58:59], v[10:11], v[16:17] op_sel:[0,0,1] op_sel_hi:[1,1,0]
	v_pk_fma_f32 v[14:15], v[4:5], 2.0, v[12:13] op_sel_hi:[1,0,1] neg_lo:[0,0,1] neg_hi:[0,0,1]
	ds_read2_b64 v[2:5], v128 offset0:156 offset1:182
	v_pk_fma_f32 v[10:11], v[58:59], v[10:11], v[16:17] op_sel:[0,0,1] op_sel_hi:[1,1,0] neg_lo:[0,0,1] neg_hi:[0,0,1]
	s_waitcnt lgkmcnt(0)
	v_pk_mul_f32 v[20:21], v[46:47], v[4:5] op_sel:[1,0]
	v_mov_b32_e32 v19, v11
	v_pk_add_f32 v[10:11], v[0:1], v[18:19] neg_lo:[0,1] neg_hi:[0,1]
	v_pk_fma_f32 v[22:23], v[46:47], v[4:5], v[20:21] op_sel:[0,0,1] op_sel_hi:[1,1,0]
	v_pk_fma_f32 v[16:17], v[0:1], 2.0, v[10:11] op_sel_hi:[1,0,1] neg_lo:[0,0,1] neg_hi:[0,0,1]
	v_pk_mul_f32 v[0:1], v[44:45], v[2:3] op_sel:[1,0]
	v_pk_fma_f32 v[4:5], v[46:47], v[4:5], v[20:21] op_sel:[0,0,1] op_sel_hi:[0,1,0] neg_lo:[0,0,1] neg_hi:[0,0,1]
	v_pk_fma_f32 v[18:19], v[44:45], v[2:3], v[0:1] op_sel:[0,0,1] op_sel_hi:[1,1,0]
	v_pk_fma_f32 v[0:1], v[44:45], v[2:3], v[0:1] op_sel:[0,0,1] op_sel_hi:[0,1,0] neg_lo:[0,0,1] neg_hi:[0,0,1]
	v_mov_b32_e32 v19, v1
	ds_read2_b64 v[0:3], v128 offset0:52 offset1:78
	v_mov_b32_e32 v23, v5
	v_pk_mul_f32 v[20:21], v[48:49], v[8:9]
	v_pk_add_f32 v[18:19], v[6:7], v[18:19] neg_lo:[0,1] neg_hi:[0,1]
	s_waitcnt lgkmcnt(0)
	v_pk_add_f32 v[4:5], v[0:1], v[22:23] neg_lo:[0,1] neg_hi:[0,1]
	v_pk_fma_f32 v[22:23], v[56:57], v[8:9], v[20:21] op_sel:[0,0,1] op_sel_hi:[1,1,0]
	v_pk_fma_f32 v[8:9], v[56:57], v[8:9], v[20:21] op_sel:[0,0,1] op_sel_hi:[1,1,0] neg_lo:[0,0,1] neg_hi:[0,0,1]
	v_pk_fma_f32 v[6:7], v[6:7], 2.0, v[18:19] op_sel_hi:[1,0,1] neg_lo:[0,0,1] neg_hi:[0,0,1]
	v_mov_b32_e32 v23, v9
	v_pk_add_f32 v[8:9], v[2:3], v[22:23] neg_lo:[0,1] neg_hi:[0,1]
	v_pk_fma_f32 v[0:1], v[0:1], 2.0, v[4:5] op_sel_hi:[1,0,1] neg_lo:[0,0,1] neg_hi:[0,0,1]
	v_pk_fma_f32 v[2:3], v[2:3], 2.0, v[8:9] op_sel_hi:[1,0,1] neg_lo:[0,0,1] neg_hi:[0,0,1]
	ds_write2_b64 v133, v[14:15], v[6:7] offset1:26
	ds_write2_b64 v133, v[18:19], v[4:5] offset0:156 offset1:182
	ds_write2_b64 v133, v[0:1], v[2:3] offset0:52 offset1:78
	ds_write_b64 v133, v[8:9] offset:1664
	ds_write2_b64 v133, v[16:17], v[12:13] offset0:104 offset1:130
	ds_write_b64 v134, v[10:11] offset:1040
	s_waitcnt lgkmcnt(0)
	; wave barrier
	s_waitcnt lgkmcnt(0)
	s_and_b64 exec, exec, vcc
	s_cbranch_execz .LBB0_15
; %bb.14:
	global_load_dwordx2 v[8:9], v130, s[2:3]
	global_load_dwordx2 v[10:11], v130, s[2:3] offset:160
	global_load_dwordx2 v[12:13], v130, s[2:3] offset:320
	;; [unrolled: 1-line block ×4, first 2 shown]
	ds_read_b64 v[22:23], v133
	global_load_dwordx2 v[26:27], v130, s[2:3] offset:800
	global_load_dwordx2 v[28:29], v130, s[2:3] offset:960
	;; [unrolled: 1-line block ×3, first 2 shown]
	v_lshl_add_u32 v38, v131, 3, v130
	ds_read2_b64 v[0:3], v38 offset0:20 offset1:40
	ds_read2_b64 v[4:7], v38 offset0:60 offset1:80
	v_mad_u64_u32 v[20:21], s[0:1], s6, v40, 0
	v_mov_b32_e32 v16, s8
	v_mov_b32_e32 v17, s9
	v_mad_u64_u32 v[24:25], s[8:9], s4, v41, 0
	v_mov_b32_e32 v32, v21
	v_mov_b32_e32 v34, v25
	v_mad_u64_u32 v[32:33], s[8:9], s7, v40, v[32:33]
	v_mad_u64_u32 v[34:35], s[8:9], s5, v41, v[34:35]
	v_mov_b32_e32 v21, v32
	v_mov_b32_e32 v25, v34
	v_lshl_add_u64 v[16:17], v[20:21], 3, v[16:17]
	v_mov_b32_e32 v39, 0xa0
	v_lshl_add_u64 v[20:21], v[24:25], 3, v[16:17]
	s_mul_i32 s6, s5, 0xa0
	v_mad_u64_u32 v[24:25], s[8:9], s4, v39, v[20:21]
	s_mov_b32 s0, 0x1f81f820
	v_add_u32_e32 v25, s6, v25
	s_mov_b32 s1, 0x3f6f81f8
	v_mad_u64_u32 v[32:33], s[8:9], s4, v39, v[24:25]
	v_add_u32_e32 v33, s6, v33
	v_mad_u64_u32 v[34:35], s[8:9], s4, v39, v[32:33]
	v_add_u32_e32 v35, s6, v35
	s_waitcnt vmcnt(7) lgkmcnt(2)
	v_mul_f32_e32 v36, v23, v9
	s_waitcnt vmcnt(6) lgkmcnt(1)
	v_mul_f32_e32 v37, v1, v11
	v_mul_f32_e32 v9, v22, v9
	;; [unrolled: 1-line block ×3, first 2 shown]
	s_waitcnt vmcnt(4) lgkmcnt(0)
	v_mul_f32_e32 v42, v5, v15
	v_mul_f32_e32 v15, v4, v15
	v_fmac_f32_e32 v36, v22, v8
	v_fmac_f32_e32 v37, v0, v10
	v_fma_f32 v8, v8, v23, -v9
	v_fma_f32 v9, v10, v1, -v11
	v_fmac_f32_e32 v42, v4, v14
	v_fma_f32 v22, v14, v5, -v15
	v_cvt_f64_f32_e32 v[0:1], v36
	v_cvt_f64_f32_e32 v[4:5], v37
	global_load_dwordx2 v[36:37], v130, s[2:3] offset:1280
	v_mul_f32_e32 v40, v3, v13
	v_mul_f32_e32 v13, v2, v13
	v_fmac_f32_e32 v40, v2, v12
	v_fma_f32 v12, v12, v3, -v13
	v_cvt_f64_f32_e32 v[2:3], v8
	v_cvt_f64_f32_e32 v[8:9], v9
	;; [unrolled: 1-line block ×6, first 2 shown]
	v_mul_f64 v[0:1], v[0:1], s[0:1]
	v_mul_f64 v[2:3], v[2:3], s[0:1]
	;; [unrolled: 1-line block ×8, first 2 shown]
	v_cvt_f32_f64_e32 v0, v[0:1]
	v_cvt_f32_f64_e32 v1, v[2:3]
	;; [unrolled: 1-line block ×8, first 2 shown]
	global_store_dwordx2 v[20:21], v[0:1], off
	global_store_dwordx2 v[24:25], v[2:3], off
	;; [unrolled: 1-line block ×4, first 2 shown]
	s_waitcnt vmcnt(8)
	v_mul_f32_e32 v0, v7, v19
	v_fmac_f32_e32 v0, v6, v18
	v_cvt_f64_f32_e32 v[0:1], v0
	global_load_dwordx2 v[4:5], v130, s[2:3] offset:1440
	v_mul_f64 v[0:1], v[0:1], s[0:1]
	v_cvt_f32_f64_e32 v8, v[0:1]
	v_mul_f32_e32 v0, v6, v19
	v_fma_f32 v0, v18, v7, -v0
	v_cvt_f64_f32_e32 v[0:1], v0
	v_mul_f64 v[0:1], v[0:1], s[0:1]
	v_mad_u64_u32 v[6:7], s[8:9], s4, v39, v[34:35]
	v_cvt_f32_f64_e32 v9, v[0:1]
	ds_read2_b64 v[0:3], v38 offset0:100 offset1:120
	v_add_u32_e32 v7, s6, v7
	global_store_dwordx2 v[6:7], v[8:9], off
	global_load_dwordx2 v[8:9], v130, s[2:3] offset:1600
	v_mad_u64_u32 v[6:7], s[8:9], s4, v39, v[6:7]
	s_waitcnt vmcnt(10) lgkmcnt(0)
	v_mul_f32_e32 v10, v1, v27
	v_fmac_f32_e32 v10, v0, v26
	v_mul_f32_e32 v0, v0, v27
	v_fma_f32 v0, v26, v1, -v0
	v_cvt_f64_f32_e32 v[10:11], v10
	v_cvt_f64_f32_e32 v[0:1], v0
	v_mul_f64 v[10:11], v[10:11], s[0:1]
	v_mul_f64 v[0:1], v[0:1], s[0:1]
	v_cvt_f32_f64_e32 v10, v[10:11]
	v_cvt_f32_f64_e32 v11, v[0:1]
	s_waitcnt vmcnt(9)
	v_mul_f32_e32 v0, v3, v29
	v_fmac_f32_e32 v0, v2, v28
	v_cvt_f64_f32_e32 v[0:1], v0
	v_add_u32_e32 v7, s6, v7
	v_mul_f64 v[0:1], v[0:1], s[0:1]
	global_store_dwordx2 v[6:7], v[10:11], off
	global_load_dwordx2 v[10:11], v130, s[2:3] offset:1760
	v_cvt_f32_f64_e32 v12, v[0:1]
	v_mul_f32_e32 v0, v2, v29
	v_fma_f32 v0, v28, v3, -v0
	v_cvt_f64_f32_e32 v[0:1], v0
	v_mul_f64 v[0:1], v[0:1], s[0:1]
	v_mad_u64_u32 v[6:7], s[8:9], s4, v39, v[6:7]
	v_cvt_f32_f64_e32 v13, v[0:1]
	v_add_u32_e32 v7, s6, v7
	global_store_dwordx2 v[6:7], v[12:13], off
	global_load_dwordx2 v[12:13], v130, s[2:3] offset:1920
	ds_read2_b64 v[0:3], v38 offset0:140 offset1:160
	v_mad_u64_u32 v[6:7], s[2:3], s4, v39, v[6:7]
	v_add_u32_e32 v7, s6, v7
	v_or_b32_e32 v21, 0xa0, v41
	s_waitcnt vmcnt(12) lgkmcnt(0)
	v_mul_f32_e32 v14, v1, v31
	v_fmac_f32_e32 v14, v0, v30
	v_mul_f32_e32 v0, v0, v31
	v_fma_f32 v0, v30, v1, -v0
	v_cvt_f64_f32_e32 v[14:15], v14
	v_cvt_f64_f32_e32 v[0:1], v0
	v_mul_f64 v[14:15], v[14:15], s[0:1]
	v_mul_f64 v[0:1], v[0:1], s[0:1]
	v_cvt_f32_f64_e32 v14, v[14:15]
	v_cvt_f32_f64_e32 v15, v[0:1]
	s_waitcnt vmcnt(11)
	v_mul_f32_e32 v0, v3, v37
	v_fmac_f32_e32 v0, v2, v36
	v_cvt_f64_f32_e32 v[0:1], v0
	v_mul_f64 v[0:1], v[0:1], s[0:1]
	global_store_dwordx2 v[6:7], v[14:15], off
	v_cvt_f32_f64_e32 v14, v[0:1]
	v_mul_f32_e32 v0, v2, v37
	v_fma_f32 v0, v36, v3, -v0
	v_cvt_f64_f32_e32 v[0:1], v0
	v_mul_f64 v[0:1], v[0:1], s[0:1]
	v_cvt_f32_f64_e32 v15, v[0:1]
	v_mad_u64_u32 v[18:19], s[2:3], s4, v21, 0
	ds_read2_b64 v[0:3], v38 offset0:180 offset1:200
	v_mov_b32_e32 v20, v19
	v_mad_u64_u32 v[20:21], s[2:3], s5, v21, v[20:21]
	v_mov_b32_e32 v19, v20
	v_lshl_add_u64 v[16:17], v[18:19], 3, v[16:17]
	global_store_dwordx2 v[16:17], v[14:15], off
	s_waitcnt vmcnt(8) lgkmcnt(0)
	v_mul_f32_e32 v14, v1, v5
	v_fmac_f32_e32 v14, v0, v4
	v_mul_f32_e32 v0, v0, v5
	v_fma_f32 v0, v4, v1, -v0
	v_cvt_f64_f32_e32 v[14:15], v14
	v_cvt_f64_f32_e32 v[0:1], v0
	v_mul_f64 v[14:15], v[14:15], s[0:1]
	v_mul_f64 v[0:1], v[0:1], s[0:1]
	v_cvt_f32_f64_e32 v14, v[14:15]
	v_cvt_f32_f64_e32 v15, v[0:1]
	v_mov_b32_e32 v0, 0x140
	v_mad_u64_u32 v[4:5], s[2:3], s4, v0, v[6:7]
	s_waitcnt vmcnt(6)
	v_mul_f32_e32 v0, v3, v9
	v_fmac_f32_e32 v0, v2, v8
	v_cvt_f64_f32_e32 v[0:1], v0
	v_mul_f64 v[0:1], v[0:1], s[0:1]
	v_cvt_f32_f64_e32 v6, v[0:1]
	v_mul_f32_e32 v0, v2, v9
	v_fma_f32 v0, v8, v3, -v0
	v_cvt_f64_f32_e32 v[0:1], v0
	v_mul_f64 v[0:1], v[0:1], s[0:1]
	v_cvt_f32_f64_e32 v7, v[0:1]
	ds_read2_b64 v[0:3], v38 offset0:220 offset1:240
	s_mul_i32 s2, s5, 0x140
	v_add_u32_e32 v5, s2, v5
	global_store_dwordx2 v[4:5], v[14:15], off
	v_mad_u64_u32 v[4:5], s[2:3], s4, v39, v[4:5]
	v_add_u32_e32 v5, s6, v5
	global_store_dwordx2 v[4:5], v[6:7], off
	s_waitcnt vmcnt(6) lgkmcnt(0)
	v_mul_f32_e32 v6, v1, v11
	v_fmac_f32_e32 v6, v0, v10
	v_mul_f32_e32 v0, v0, v11
	v_fma_f32 v0, v10, v1, -v0
	v_cvt_f64_f32_e32 v[6:7], v6
	v_cvt_f64_f32_e32 v[0:1], v0
	v_mul_f64 v[6:7], v[6:7], s[0:1]
	v_mul_f64 v[0:1], v[0:1], s[0:1]
	v_cvt_f32_f64_e32 v6, v[6:7]
	v_cvt_f32_f64_e32 v7, v[0:1]
	v_mad_u64_u32 v[0:1], s[2:3], s4, v39, v[4:5]
	s_waitcnt vmcnt(4)
	v_mul_f32_e32 v4, v3, v13
	v_fmac_f32_e32 v4, v2, v12
	v_mul_f32_e32 v2, v2, v13
	v_fma_f32 v2, v12, v3, -v2
	v_add_u32_e32 v1, s6, v1
	v_cvt_f64_f32_e32 v[4:5], v4
	v_cvt_f64_f32_e32 v[2:3], v2
	global_store_dwordx2 v[0:1], v[6:7], off
	v_mul_f64 v[4:5], v[4:5], s[0:1]
	v_mul_f64 v[2:3], v[2:3], s[0:1]
	v_mad_u64_u32 v[0:1], s[0:1], s4, v39, v[0:1]
	v_cvt_f32_f64_e32 v4, v[4:5]
	v_cvt_f32_f64_e32 v5, v[2:3]
	v_add_u32_e32 v1, s6, v1
	global_store_dwordx2 v[0:1], v[4:5], off
.LBB0_15:
	s_endpgm
	.section	.rodata,"a",@progbits
	.p2align	6, 0x0
	.amdhsa_kernel bluestein_single_back_len260_dim1_sp_op_CI_CI
		.amdhsa_group_segment_fixed_size 4160
		.amdhsa_private_segment_fixed_size 0
		.amdhsa_kernarg_size 104
		.amdhsa_user_sgpr_count 2
		.amdhsa_user_sgpr_dispatch_ptr 0
		.amdhsa_user_sgpr_queue_ptr 0
		.amdhsa_user_sgpr_kernarg_segment_ptr 1
		.amdhsa_user_sgpr_dispatch_id 0
		.amdhsa_user_sgpr_kernarg_preload_length 0
		.amdhsa_user_sgpr_kernarg_preload_offset 0
		.amdhsa_user_sgpr_private_segment_size 0
		.amdhsa_uses_dynamic_stack 0
		.amdhsa_enable_private_segment 0
		.amdhsa_system_sgpr_workgroup_id_x 1
		.amdhsa_system_sgpr_workgroup_id_y 0
		.amdhsa_system_sgpr_workgroup_id_z 0
		.amdhsa_system_sgpr_workgroup_info 0
		.amdhsa_system_vgpr_workitem_id 0
		.amdhsa_next_free_vgpr 214
		.amdhsa_next_free_sgpr 42
		.amdhsa_accum_offset 216
		.amdhsa_reserve_vcc 1
		.amdhsa_float_round_mode_32 0
		.amdhsa_float_round_mode_16_64 0
		.amdhsa_float_denorm_mode_32 3
		.amdhsa_float_denorm_mode_16_64 3
		.amdhsa_dx10_clamp 1
		.amdhsa_ieee_mode 1
		.amdhsa_fp16_overflow 0
		.amdhsa_tg_split 0
		.amdhsa_exception_fp_ieee_invalid_op 0
		.amdhsa_exception_fp_denorm_src 0
		.amdhsa_exception_fp_ieee_div_zero 0
		.amdhsa_exception_fp_ieee_overflow 0
		.amdhsa_exception_fp_ieee_underflow 0
		.amdhsa_exception_fp_ieee_inexact 0
		.amdhsa_exception_int_div_zero 0
	.end_amdhsa_kernel
	.text
.Lfunc_end0:
	.size	bluestein_single_back_len260_dim1_sp_op_CI_CI, .Lfunc_end0-bluestein_single_back_len260_dim1_sp_op_CI_CI
                                        ; -- End function
	.section	.AMDGPU.csdata,"",@progbits
; Kernel info:
; codeLenInByte = 11156
; NumSgprs: 48
; NumVgprs: 214
; NumAgprs: 0
; TotalNumVgprs: 214
; ScratchSize: 0
; MemoryBound: 0
; FloatMode: 240
; IeeeMode: 1
; LDSByteSize: 4160 bytes/workgroup (compile time only)
; SGPRBlocks: 5
; VGPRBlocks: 26
; NumSGPRsForWavesPerEU: 48
; NumVGPRsForWavesPerEU: 214
; AccumOffset: 216
; Occupancy: 2
; WaveLimiterHint : 1
; COMPUTE_PGM_RSRC2:SCRATCH_EN: 0
; COMPUTE_PGM_RSRC2:USER_SGPR: 2
; COMPUTE_PGM_RSRC2:TRAP_HANDLER: 0
; COMPUTE_PGM_RSRC2:TGID_X_EN: 1
; COMPUTE_PGM_RSRC2:TGID_Y_EN: 0
; COMPUTE_PGM_RSRC2:TGID_Z_EN: 0
; COMPUTE_PGM_RSRC2:TIDIG_COMP_CNT: 0
; COMPUTE_PGM_RSRC3_GFX90A:ACCUM_OFFSET: 53
; COMPUTE_PGM_RSRC3_GFX90A:TG_SPLIT: 0
	.text
	.p2alignl 6, 3212836864
	.fill 256, 4, 3212836864
	.type	__hip_cuid_6f296d0335b60f58,@object ; @__hip_cuid_6f296d0335b60f58
	.section	.bss,"aw",@nobits
	.globl	__hip_cuid_6f296d0335b60f58
__hip_cuid_6f296d0335b60f58:
	.byte	0                               ; 0x0
	.size	__hip_cuid_6f296d0335b60f58, 1

	.ident	"AMD clang version 19.0.0git (https://github.com/RadeonOpenCompute/llvm-project roc-6.4.0 25133 c7fe45cf4b819c5991fe208aaa96edf142730f1d)"
	.section	".note.GNU-stack","",@progbits
	.addrsig
	.addrsig_sym __hip_cuid_6f296d0335b60f58
	.amdgpu_metadata
---
amdhsa.kernels:
  - .agpr_count:     0
    .args:
      - .actual_access:  read_only
        .address_space:  global
        .offset:         0
        .size:           8
        .value_kind:     global_buffer
      - .actual_access:  read_only
        .address_space:  global
        .offset:         8
        .size:           8
        .value_kind:     global_buffer
      - .actual_access:  read_only
        .address_space:  global
        .offset:         16
        .size:           8
        .value_kind:     global_buffer
      - .actual_access:  read_only
        .address_space:  global
        .offset:         24
        .size:           8
        .value_kind:     global_buffer
      - .actual_access:  read_only
        .address_space:  global
        .offset:         32
        .size:           8
        .value_kind:     global_buffer
      - .offset:         40
        .size:           8
        .value_kind:     by_value
      - .address_space:  global
        .offset:         48
        .size:           8
        .value_kind:     global_buffer
      - .address_space:  global
        .offset:         56
        .size:           8
        .value_kind:     global_buffer
      - .address_space:  global
        .offset:         64
        .size:           8
        .value_kind:     global_buffer
      - .address_space:  global
        .offset:         72
        .size:           8
        .value_kind:     global_buffer
      - .offset:         80
        .size:           4
        .value_kind:     by_value
      - .address_space:  global
        .offset:         88
        .size:           8
        .value_kind:     global_buffer
      - .address_space:  global
        .offset:         96
        .size:           8
        .value_kind:     global_buffer
    .group_segment_fixed_size: 4160
    .kernarg_segment_align: 8
    .kernarg_segment_size: 104
    .language:       OpenCL C
    .language_version:
      - 2
      - 0
    .max_flat_workgroup_size: 52
    .name:           bluestein_single_back_len260_dim1_sp_op_CI_CI
    .private_segment_fixed_size: 0
    .sgpr_count:     48
    .sgpr_spill_count: 0
    .symbol:         bluestein_single_back_len260_dim1_sp_op_CI_CI.kd
    .uniform_work_group_size: 1
    .uses_dynamic_stack: false
    .vgpr_count:     214
    .vgpr_spill_count: 0
    .wavefront_size: 64
amdhsa.target:   amdgcn-amd-amdhsa--gfx950
amdhsa.version:
  - 1
  - 2
...

	.end_amdgpu_metadata
